;; amdgpu-corpus repo=ROCm/rocFFT kind=compiled arch=gfx906 opt=O3
	.text
	.amdgcn_target "amdgcn-amd-amdhsa--gfx906"
	.amdhsa_code_object_version 6
	.protected	bluestein_single_back_len810_dim1_half_op_CI_CI ; -- Begin function bluestein_single_back_len810_dim1_half_op_CI_CI
	.globl	bluestein_single_back_len810_dim1_half_op_CI_CI
	.p2align	8
	.type	bluestein_single_back_len810_dim1_half_op_CI_CI,@function
bluestein_single_back_len810_dim1_half_op_CI_CI: ; @bluestein_single_back_len810_dim1_half_op_CI_CI
; %bb.0:
	s_load_dwordx4 s[12:15], s[4:5], 0x28
	v_mul_u32_u24_e32 v1, 0x32a, v0
	v_add_u32_sdwa v10, s6, v1 dst_sel:DWORD dst_unused:UNUSED_PAD src0_sel:DWORD src1_sel:WORD_1
	v_mov_b32_e32 v11, 0
	s_waitcnt lgkmcnt(0)
	v_cmp_gt_u64_e32 vcc, s[12:13], v[10:11]
	s_and_saveexec_b64 s[0:1], vcc
	s_cbranch_execz .LBB0_39
; %bb.1:
	s_load_dwordx4 s[0:3], s[4:5], 0x18
	s_load_dwordx2 s[12:13], s[4:5], 0x0
	s_waitcnt lgkmcnt(0)
	v_mov_b32_e32 v9, s13
	s_load_dwordx4 s[8:11], s[0:1], 0x0
	s_movk_i32 s0, 0x51
	v_mul_lo_u16_sdwa v1, v1, s0 dst_sel:DWORD dst_unused:UNUSED_PAD src0_sel:WORD_1 src1_sel:DWORD
	v_sub_u16_e32 v52, v0, v1
	v_lshlrev_b32_e32 v43, 2, v52
	s_waitcnt lgkmcnt(0)
	v_mad_u64_u32 v[0:1], s[0:1], s10, v10, 0
	v_mad_u64_u32 v[2:3], s[0:1], s8, v52, 0
	global_load_dword v53, v43, s[12:13]
	v_mad_u64_u32 v[4:5], s[0:1], s11, v10, v[1:2]
	v_mad_u64_u32 v[5:6], s[0:1], s9, v52, v[3:4]
	v_mov_b32_e32 v1, v4
	v_lshlrev_b64 v[0:1], 2, v[0:1]
	v_mov_b32_e32 v6, s15
	v_mov_b32_e32 v3, v5
	v_add_co_u32_e32 v4, vcc, s14, v0
	v_addc_co_u32_e32 v5, vcc, v6, v1, vcc
	v_lshlrev_b64 v[0:1], 2, v[2:3]
	s_mul_i32 s0, s9, 0x10e
	s_mul_hi_u32 s1, s8, 0x10e
	v_add_co_u32_e32 v0, vcc, v4, v0
	s_add_i32 s1, s1, s0
	s_mul_i32 s0, s8, 0x10e
	v_addc_co_u32_e32 v1, vcc, v5, v1, vcc
	s_lshl_b64 s[14:15], s[0:1], 2
	v_mov_b32_e32 v4, s15
	v_add_co_u32_e32 v2, vcc, s14, v0
	v_addc_co_u32_e32 v3, vcc, v1, v4, vcc
	global_load_dword v5, v[0:1], off
	global_load_dword v6, v[2:3], off
	global_load_dword v51, v43, s[12:13] offset:1080
	v_add_co_u32_e32 v0, vcc, s14, v2
	v_addc_co_u32_e32 v1, vcc, v3, v4, vcc
	s_mul_hi_u32 s1, s8, 0xfffffe35
	global_load_dword v2, v[0:1], off
	global_load_dword v50, v43, s[12:13] offset:2160
	s_mul_i32 s0, s9, 0xfffffe35
	s_sub_i32 s1, s1, s8
	s_add_i32 s1, s1, s0
	s_mul_i32 s0, s8, 0xfffffe35
	s_lshl_b64 s[16:17], s[0:1], 2
	v_mov_b32_e32 v3, s17
	v_add_co_u32_e32 v0, vcc, s16, v0
	v_addc_co_u32_e32 v1, vcc, v1, v3, vcc
	global_load_dword v7, v[0:1], off
	global_load_dword v49, v43, s[12:13] offset:324
	v_add_co_u32_e32 v0, vcc, s14, v0
	v_addc_co_u32_e32 v1, vcc, v1, v4, vcc
	global_load_dword v11, v[0:1], off
	global_load_dword v48, v43, s[12:13] offset:1404
	;; [unrolled: 4-line block ×4, first 2 shown]
	global_load_dword v46, v43, s[12:13] offset:648
	v_add_co_u32_e32 v0, vcc, s14, v0
	v_addc_co_u32_e32 v1, vcc, v1, v4, vcc
	global_load_dword v13, v[0:1], off
	v_add_co_u32_e32 v0, vcc, s14, v0
	v_addc_co_u32_e32 v1, vcc, v1, v4, vcc
	global_load_dword v4, v[0:1], off
	global_load_dword v44, v43, s[12:13] offset:2808
	s_load_dwordx2 s[6:7], s[4:5], 0x38
	s_load_dwordx4 s[8:11], s[2:3], 0x0
	v_add_co_u32_e32 v8, vcc, s12, v43
	v_addc_co_u32_e32 v9, vcc, 0, v9, vcc
	v_cmp_gt_u16_e64 s[0:1], 27, v52
	s_waitcnt vmcnt(16)
	v_lshrrev_b32_e32 v14, 16, v5
	v_mul_f16_sdwa v15, v53, v5 dst_sel:DWORD dst_unused:UNUSED_PAD src0_sel:WORD_1 src1_sel:DWORD
	v_fma_f16 v15, v53, v14, -v15
	v_mul_f16_sdwa v14, v53, v14 dst_sel:DWORD dst_unused:UNUSED_PAD src0_sel:WORD_1 src1_sel:DWORD
	s_waitcnt vmcnt(15)
	v_lshrrev_b32_e32 v16, 16, v6
	v_fma_f16 v5, v53, v5, v14
	s_waitcnt vmcnt(14)
	v_mul_f16_sdwa v14, v51, v16 dst_sel:DWORD dst_unused:UNUSED_PAD src0_sel:WORD_1 src1_sel:DWORD
	v_fma_f16 v14, v51, v6, v14
	v_mul_f16_sdwa v6, v51, v6 dst_sel:DWORD dst_unused:UNUSED_PAD src0_sel:WORD_1 src1_sel:DWORD
	v_fma_f16 v6, v51, v16, -v6
	v_pack_b32_f16 v6, v14, v6
	ds_write_b32 v43, v6 offset:1080
	s_waitcnt vmcnt(13)
	v_lshrrev_b32_e32 v6, 16, v2
	s_waitcnt vmcnt(12)
	v_mul_f16_sdwa v14, v50, v6 dst_sel:DWORD dst_unused:UNUSED_PAD src0_sel:WORD_1 src1_sel:DWORD
	v_fma_f16 v14, v50, v2, v14
	v_mul_f16_sdwa v2, v50, v2 dst_sel:DWORD dst_unused:UNUSED_PAD src0_sel:WORD_1 src1_sel:DWORD
	v_fma_f16 v2, v50, v6, -v2
	v_pack_b32_f16 v2, v14, v2
	ds_write_b32 v43, v2 offset:2160
	s_waitcnt vmcnt(11)
	v_lshrrev_b32_e32 v2, 16, v7
	s_waitcnt vmcnt(10)
	v_mul_f16_sdwa v6, v49, v2 dst_sel:DWORD dst_unused:UNUSED_PAD src0_sel:WORD_1 src1_sel:DWORD
	v_fma_f16 v6, v49, v7, v6
	v_mul_f16_sdwa v7, v49, v7 dst_sel:DWORD dst_unused:UNUSED_PAD src0_sel:WORD_1 src1_sel:DWORD
	v_fma_f16 v2, v49, v2, -v7
	v_pack_b32_f16 v5, v5, v15
	v_pack_b32_f16 v2, v6, v2
	ds_write2_b32 v43, v5, v2 offset1:81
	s_waitcnt vmcnt(9)
	v_lshrrev_b32_e32 v2, 16, v11
	s_waitcnt vmcnt(8)
	v_mul_f16_sdwa v5, v48, v2 dst_sel:DWORD dst_unused:UNUSED_PAD src0_sel:WORD_1 src1_sel:DWORD
	v_mul_f16_sdwa v6, v48, v11 dst_sel:DWORD dst_unused:UNUSED_PAD src0_sel:WORD_1 src1_sel:DWORD
	v_fma_f16 v5, v48, v11, v5
	v_fma_f16 v2, v48, v2, -v6
	v_pack_b32_f16 v5, v5, v2
	s_waitcnt vmcnt(7)
	v_lshrrev_b32_e32 v2, 16, v12
	s_waitcnt vmcnt(6)
	v_mul_f16_sdwa v6, v47, v2 dst_sel:DWORD dst_unused:UNUSED_PAD src0_sel:WORD_1 src1_sel:DWORD
	v_mul_f16_sdwa v7, v47, v12 dst_sel:DWORD dst_unused:UNUSED_PAD src0_sel:WORD_1 src1_sel:DWORD
	v_fma_f16 v6, v47, v12, v6
	v_fma_f16 v2, v47, v2, -v7
	v_pack_b32_f16 v6, v6, v2
	s_waitcnt vmcnt(5)
	v_lshrrev_b32_e32 v2, 16, v3
	s_waitcnt vmcnt(3)
	v_mul_f16_sdwa v7, v46, v2 dst_sel:DWORD dst_unused:UNUSED_PAD src0_sel:WORD_1 src1_sel:DWORD
	v_fma_f16 v7, v46, v3, v7
	v_mul_f16_sdwa v3, v46, v3 dst_sel:DWORD dst_unused:UNUSED_PAD src0_sel:WORD_1 src1_sel:DWORD
	v_fma_f16 v2, v46, v2, -v3
	v_pack_b32_f16 v2, v7, v2
	ds_write_b32 v43, v2 offset:648
	s_waitcnt vmcnt(2)
	v_lshrrev_b32_e32 v2, 16, v13
	v_mul_f16_sdwa v3, v45, v2 dst_sel:DWORD dst_unused:UNUSED_PAD src0_sel:WORD_1 src1_sel:DWORD
	v_mul_f16_sdwa v7, v45, v13 dst_sel:DWORD dst_unused:UNUSED_PAD src0_sel:WORD_1 src1_sel:DWORD
	v_fma_f16 v3, v45, v13, v3
	v_fma_f16 v2, v45, v2, -v7
	v_pack_b32_f16 v3, v3, v2
	v_add_u32_e32 v2, 0x400, v43
	ds_write2_b32 v2, v5, v3 offset0:95 offset1:176
	s_waitcnt vmcnt(1)
	v_lshrrev_b32_e32 v3, 16, v4
	s_waitcnt vmcnt(0)
	v_mul_f16_sdwa v5, v44, v3 dst_sel:DWORD dst_unused:UNUSED_PAD src0_sel:WORD_1 src1_sel:DWORD
	v_fma_f16 v5, v44, v4, v5
	v_mul_f16_sdwa v4, v44, v4 dst_sel:DWORD dst_unused:UNUSED_PAD src0_sel:WORD_1 src1_sel:DWORD
	v_fma_f16 v3, v44, v3, -v4
	v_pack_b32_f16 v4, v5, v3
	v_add_u32_e32 v3, 0x800, v43
	ds_write2_b32 v3, v6, v4 offset0:109 offset1:190
	s_and_saveexec_b64 s[2:3], s[0:1]
	s_cbranch_execz .LBB0_3
; %bb.2:
	v_mov_b32_e32 v4, s17
	v_add_co_u32_e32 v0, vcc, s16, v0
	v_addc_co_u32_e32 v1, vcc, v1, v4, vcc
	global_load_dword v4, v[0:1], off
	global_load_dword v5, v[8:9], off offset:972
	v_mov_b32_e32 v6, s15
	v_add_co_u32_e32 v0, vcc, s14, v0
	v_addc_co_u32_e32 v1, vcc, v1, v6, vcc
	global_load_dword v7, v[0:1], off
	global_load_dword v11, v[8:9], off offset:2052
	v_add_co_u32_e32 v0, vcc, s14, v0
	v_addc_co_u32_e32 v1, vcc, v1, v6, vcc
	global_load_dword v6, v[0:1], off
	global_load_dword v12, v[8:9], off offset:3132
	s_waitcnt vmcnt(5)
	v_lshrrev_b32_e32 v0, 16, v4
	s_waitcnt vmcnt(4)
	v_mul_f16_sdwa v1, v5, v4 dst_sel:DWORD dst_unused:UNUSED_PAD src0_sel:WORD_1 src1_sel:DWORD
	v_mul_f16_sdwa v13, v5, v0 dst_sel:DWORD dst_unused:UNUSED_PAD src0_sel:WORD_1 src1_sel:DWORD
	v_fma_f16 v0, v5, v0, -v1
	v_fma_f16 v4, v5, v4, v13
	v_pack_b32_f16 v0, v4, v0
	s_waitcnt vmcnt(3)
	v_lshrrev_b32_e32 v1, 16, v7
	s_waitcnt vmcnt(2)
	v_mul_f16_sdwa v14, v11, v7 dst_sel:DWORD dst_unused:UNUSED_PAD src0_sel:WORD_1 src1_sel:DWORD
	v_mul_f16_sdwa v5, v11, v1 dst_sel:DWORD dst_unused:UNUSED_PAD src0_sel:WORD_1 src1_sel:DWORD
	v_fma_f16 v1, v11, v1, -v14
	v_fma_f16 v4, v11, v7, v5
	s_waitcnt vmcnt(1)
	v_lshrrev_b32_e32 v13, 16, v6
	s_waitcnt vmcnt(0)
	v_mul_f16_sdwa v14, v12, v6 dst_sel:DWORD dst_unused:UNUSED_PAD src0_sel:WORD_1 src1_sel:DWORD
	v_mul_f16_sdwa v5, v12, v13 dst_sel:DWORD dst_unused:UNUSED_PAD src0_sel:WORD_1 src1_sel:DWORD
	v_fma_f16 v7, v12, v13, -v14
	ds_write_b32 v43, v0 offset:972
	v_pack_b32_f16 v0, v4, v1
	v_fma_f16 v1, v12, v6, v5
	ds_write_b32 v43, v0 offset:2052
	v_pack_b32_f16 v0, v1, v7
	ds_write_b32 v43, v0 offset:3132
.LBB0_3:
	s_or_b64 exec, exec, s[2:3]
	v_add_u32_e32 v0, 0x200, v43
	s_waitcnt lgkmcnt(0)
	s_barrier
	ds_read2_b32 v[4:5], v43 offset1:81
	ds_read2_b32 v[0:1], v0 offset0:34 offset1:142
	ds_read2_b32 v[6:7], v3 offset0:28 offset1:109
	;; [unrolled: 1-line block ×3, first 2 shown]
	ds_read_b32 v14, v43 offset:2808
	s_load_dwordx2 s[2:3], s[4:5], 0x8
                                        ; implicit-def: $vgpr11
                                        ; implicit-def: $vgpr12
                                        ; implicit-def: $vgpr13
	s_and_saveexec_b64 s[4:5], s[0:1]
	s_cbranch_execz .LBB0_5
; %bb.4:
	ds_read_b32 v11, v43 offset:972
	ds_read_b32 v12, v43 offset:2052
	;; [unrolled: 1-line block ×3, first 2 shown]
.LBB0_5:
	s_or_b64 exec, exec, s[4:5]
	v_add_co_u32_e32 v67, vcc, 0x51, v52
	v_addc_co_u32_e64 v23, s[4:5], 0, 0, vcc
	v_add_co_u32_e32 v66, vcc, 0xa2, v52
	v_add_co_u32_e32 v64, vcc, 0xf3, v52
	v_addc_co_u32_e64 v65, s[4:5], 0, 0, vcc
	s_waitcnt lgkmcnt(0)
	v_pk_add_f16 v18, v12, v13
	v_pk_add_f16 v19, v12, v13 neg_lo:[0,1] neg_hi:[0,1]
	s_movk_i32 s4, 0x3aee
	v_pk_fma_f16 v18, v18, 0.5, v11 op_sel_hi:[1,0,1] neg_lo:[1,0,0] neg_hi:[1,0,0]
	v_pk_mul_f16 v19, v19, s4 op_sel_hi:[1,0]
	v_pk_add_f16 v24, v18, v19 op_sel:[0,1] op_sel_hi:[1,0]
	v_pk_add_f16 v25, v18, v19 op_sel:[0,1] op_sel_hi:[1,0] neg_lo:[0,1] neg_hi:[0,1]
	v_mul_lo_u16_e32 v18, 3, v52
	v_pk_add_f16 v15, v4, v1
	v_lshlrev_b32_e32 v54, 2, v18
	v_pk_add_f16 v18, v1, v6
	v_pk_add_f16 v1, v1, v6 neg_lo:[0,1] neg_hi:[0,1]
	v_pk_fma_f16 v4, v18, 0.5, v4 op_sel_hi:[1,0,1] neg_lo:[1,0,0] neg_hi:[1,0,0]
	v_pk_mul_f16 v1, v1, s4 op_sel_hi:[1,0]
	v_pk_add_f16 v15, v15, v6
	v_pk_add_f16 v6, v4, v1 op_sel:[0,1] op_sel_hi:[1,0]
	v_pk_add_f16 v1, v4, v1 op_sel:[0,1] op_sel_hi:[1,0] neg_lo:[0,1] neg_hi:[0,1]
	s_mov_b32 s14, 0xffff
	v_bfi_b32 v4, s14, v6, v1
	v_pk_add_f16 v16, v5, v2
	s_barrier
	ds_write2_b32 v54, v15, v4 offset1:1
	v_pk_add_f16 v4, v2, v7
	v_pk_add_f16 v2, v2, v7 neg_lo:[0,1] neg_hi:[0,1]
	v_bfi_b32 v1, s14, v1, v6
	v_pk_fma_f16 v4, v4, 0.5, v5 op_sel_hi:[1,0,1] neg_lo:[1,0,0] neg_hi:[1,0,0]
	v_pk_mul_f16 v2, v2, s4 op_sel_hi:[1,0]
	ds_write_b32 v54, v1 offset:8
	v_mul_u32_u24_e32 v1, 3, v67
	v_pk_add_f16 v5, v4, v2 op_sel:[0,1] op_sel_hi:[1,0]
	v_pk_add_f16 v2, v4, v2 op_sel:[0,1] op_sel_hi:[1,0] neg_lo:[0,1] neg_hi:[0,1]
	v_lshlrev_b32_e32 v55, 2, v1
	v_pk_add_f16 v1, v16, v7
	v_bfi_b32 v4, s14, v5, v2
	ds_write2_b32 v55, v1, v4 offset1:1
	v_bfi_b32 v1, s14, v2, v5
	v_pk_add_f16 v2, v3, v14
	v_pk_add_f16 v17, v0, v3
	v_pk_fma_f16 v0, v2, 0.5, v0 op_sel_hi:[1,0,1] neg_lo:[1,0,0] neg_hi:[1,0,0]
	v_pk_add_f16 v2, v3, v14 neg_lo:[0,1] neg_hi:[0,1]
	v_pk_mul_f16 v2, v2, s4 op_sel_hi:[1,0]
	ds_write_b32 v55, v1 offset:8
	v_mul_u32_u24_e32 v1, 3, v66
	v_pk_add_f16 v3, v0, v2 op_sel:[0,1] op_sel_hi:[1,0]
	v_pk_add_f16 v0, v0, v2 op_sel:[0,1] op_sel_hi:[1,0] neg_lo:[0,1] neg_hi:[0,1]
	v_lshrrev_b32_e32 v26, 16, v24
	v_lshlrev_b32_e32 v56, 2, v1
	v_pk_add_f16 v1, v17, v14
	v_bfi_b32 v2, s14, v3, v0
	v_bfi_b32 v0, s14, v0, v3
	v_mul_u32_u24_e32 v57, 3, v64
	ds_write2_b32 v56, v1, v2 offset1:1
	ds_write_b32 v56, v0 offset:8
	s_and_saveexec_b64 s[4:5], s[0:1]
	s_cbranch_execz .LBB0_7
; %bb.6:
	v_pk_add_f16 v1, v11, v12
	v_lshlrev_b32_e32 v0, 2, v57
	v_pk_add_f16 v1, v1, v13
	ds_write_b32 v0, v1
	v_bfi_b32 v1, s14, v24, v25
	s_mov_b32 s14, 0x5040100
	v_perm_b32 v2, v26, v25, s14
	ds_write2_b32 v0, v1, v2 offset0:1 offset1:2
.LBB0_7:
	s_or_b64 exec, exec, s[4:5]
	s_movk_i32 s4, 0xab
	v_mul_lo_u16_sdwa v0, v52, s4 dst_sel:DWORD dst_unused:UNUSED_PAD src0_sel:BYTE_0 src1_sel:DWORD
	v_lshrrev_b16_e32 v21, 9, v0
	v_mul_lo_u16_e32 v0, 3, v21
	v_sub_u16_e32 v0, v52, v0
	v_and_b32_e32 v22, 0xff, v0
	v_mad_u64_u32 v[11:12], s[4:5], v22, 36, s[2:3]
	s_waitcnt lgkmcnt(0)
	s_barrier
	global_load_dwordx4 v[0:3], v[11:12], off
	global_load_dwordx4 v[4:7], v[11:12], off offset:16
	global_load_dword v58, v[11:12], off offset:32
	ds_read2_b32 v[11:12], v43 offset0:162 offset1:243
	v_add_u32_e32 v29, 0x400, v43
	v_add_u32_e32 v17, 0x600, v43
	;; [unrolled: 1-line block ×3, first 2 shown]
	ds_read2_b32 v[13:14], v43 offset1:81
	ds_read2_b32 v[15:16], v29 offset0:68 offset1:149
	ds_read2_b32 v[17:18], v17 offset0:102 offset1:183
	;; [unrolled: 1-line block ×3, first 2 shown]
	s_waitcnt lgkmcnt(4)
	v_lshrrev_b32_e32 v27, 16, v11
	v_lshrrev_b32_e32 v28, 16, v12
	s_waitcnt lgkmcnt(2)
	v_lshrrev_b32_e32 v33, 16, v15
	s_waitcnt lgkmcnt(1)
	;; [unrolled: 2-line block ×3, first 2 shown]
	v_lshrrev_b32_e32 v37, 16, v19
	v_lshrrev_b32_e32 v34, 16, v16
	s_movk_i32 s15, 0x3b9c
	s_mov_b32 s14, 0xbb9c
	v_lshrrev_b32_e32 v32, 16, v13
	s_movk_i32 s5, 0x38b4
	s_mov_b32 s4, 0xb8b4
	s_movk_i32 s16, 0x34f2
	v_lshrrev_b32_e32 v36, 16, v18
	v_lshrrev_b32_e32 v38, 16, v20
	v_lshrrev_b32_e32 v31, 16, v14
	s_movk_i32 s17, 0x3a79
	s_waitcnt vmcnt(0)
	s_barrier
	v_mul_f16_sdwa v39, v27, v1 dst_sel:DWORD dst_unused:UNUSED_PAD src0_sel:DWORD src1_sel:WORD_1
	v_mul_f16_sdwa v40, v11, v1 dst_sel:DWORD dst_unused:UNUSED_PAD src0_sel:DWORD src1_sel:WORD_1
	;; [unrolled: 1-line block ×4, first 2 shown]
	v_fma_f16 v11, v11, v1, -v39
	v_mul_f16_sdwa v42, v12, v2 dst_sel:DWORD dst_unused:UNUSED_PAD src0_sel:DWORD src1_sel:WORD_1
	v_mul_f16_sdwa v60, v15, v3 dst_sel:DWORD dst_unused:UNUSED_PAD src0_sel:DWORD src1_sel:WORD_1
	;; [unrolled: 1-line block ×4, first 2 shown]
	v_fma_f16 v12, v12, v2, -v41
	v_fma_f16 v15, v15, v3, -v59
	v_add_f16_e32 v41, v13, v11
	v_mul_f16_sdwa v68, v17, v5 dst_sel:DWORD dst_unused:UNUSED_PAD src0_sel:DWORD src1_sel:WORD_1
	v_mul_f16_sdwa v72, v19, v7 dst_sel:DWORD dst_unused:UNUSED_PAD src0_sel:DWORD src1_sel:WORD_1
	v_fma_f16 v17, v17, v5, -v63
	v_fma_f16 v19, v19, v7, -v71
	v_add_f16_e32 v41, v41, v15
	v_mul_f16_sdwa v61, v34, v4 dst_sel:DWORD dst_unused:UNUSED_PAD src0_sel:DWORD src1_sel:WORD_1
	v_mul_f16_sdwa v62, v16, v4 dst_sel:DWORD dst_unused:UNUSED_PAD src0_sel:DWORD src1_sel:WORD_1
	v_fma_f16 v27, v27, v1, v40
	v_fma_f16 v33, v33, v3, v60
	;; [unrolled: 1-line block ×4, first 2 shown]
	v_add_f16_e32 v39, v15, v17
	v_add_f16_e32 v40, v11, v19
	;; [unrolled: 1-line block ×3, first 2 shown]
	v_fma_f16 v16, v16, v4, -v61
	v_fma_f16 v28, v28, v2, v42
	v_fma_f16 v34, v34, v4, v62
	v_sub_f16_e32 v42, v11, v15
	v_sub_f16_e32 v59, v19, v17
	;; [unrolled: 1-line block ×6, first 2 shown]
	v_fma_f16 v39, v39, -0.5, v13
	v_fma_f16 v13, v40, -0.5, v13
	v_add_f16_e32 v41, v41, v19
	v_sub_f16_e32 v11, v11, v19
	v_sub_f16_e32 v15, v15, v17
	;; [unrolled: 1-line block ×4, first 2 shown]
	v_add_f16_e32 v40, v42, v59
	v_add_f16_e32 v42, v60, v61
	v_fma_f16 v59, v62, s15, v39
	v_fma_f16 v39, v62, s14, v39
	;; [unrolled: 1-line block ×4, first 2 shown]
	v_add_f16_e32 v17, v17, v19
	v_add_f16_e32 v19, v33, v35
	v_fma_f16 v59, v63, s5, v59
	v_fma_f16 v39, v63, s4, v39
	;; [unrolled: 1-line block ×4, first 2 shown]
	v_fma_f16 v19, v19, -0.5, v32
	v_fma_f16 v59, v40, s16, v59
	v_fma_f16 v39, v40, s16, v39
	;; [unrolled: 1-line block ×10, first 2 shown]
	v_add_f16_e32 v19, v27, v37
	v_fma_f16 v19, v19, -0.5, v32
	v_add_f16_e32 v32, v32, v27
	v_add_f16_e32 v32, v32, v33
	v_sub_f16_e32 v27, v33, v27
	v_sub_f16_e32 v33, v35, v37
	v_mul_f16_sdwa v69, v36, v6 dst_sel:DWORD dst_unused:UNUSED_PAD src0_sel:DWORD src1_sel:WORD_1
	v_mul_f16_sdwa v73, v38, v58 dst_sel:DWORD dst_unused:UNUSED_PAD src0_sel:DWORD src1_sel:WORD_1
	v_add_f16_e32 v27, v27, v33
	v_fma_f16 v33, v15, s15, v19
	v_fma_f16 v15, v15, s14, v19
	v_mul_f16_sdwa v70, v18, v6 dst_sel:DWORD dst_unused:UNUSED_PAD src0_sel:DWORD src1_sel:WORD_1
	v_mul_f16_sdwa v74, v20, v58 dst_sel:DWORD dst_unused:UNUSED_PAD src0_sel:DWORD src1_sel:WORD_1
	v_fma_f16 v18, v18, v6, -v69
	v_fma_f16 v20, v20, v58, -v73
	v_fma_f16 v19, v11, s4, v33
	v_fma_f16 v11, v11, s5, v15
	v_mul_f16_sdwa v76, v31, v0 dst_sel:DWORD dst_unused:UNUSED_PAD src0_sel:DWORD src1_sel:WORD_1
	v_fma_f16 v15, v27, s16, v19
	v_fma_f16 v11, v27, s16, v11
	v_sub_f16_e32 v19, v12, v16
	v_sub_f16_e32 v27, v20, v18
	v_mul_f16_sdwa v75, v14, v0 dst_sel:DWORD dst_unused:UNUSED_PAD src0_sel:DWORD src1_sel:WORD_1
	v_fma_f16 v38, v38, v58, v74
	v_fma_f16 v14, v14, v0, -v76
	v_add_f16_e32 v19, v19, v27
	v_add_f16_e32 v27, v16, v18
	v_fma_f16 v36, v36, v6, v70
	v_add_f16_e32 v32, v32, v35
	v_fma_f16 v27, v27, -0.5, v14
	v_sub_f16_e32 v33, v28, v38
	v_add_f16_e32 v32, v32, v37
	v_fma_f16 v35, v33, s15, v27
	v_sub_f16_e32 v37, v34, v36
	v_fma_f16 v27, v33, s14, v27
	v_fma_f16 v35, v37, s5, v35
	v_fma_f16 v27, v37, s4, v27
	v_fma_f16 v35, v19, s16, v35
	v_fma_f16 v19, v19, s16, v27
	v_sub_f16_e32 v27, v16, v12
	v_sub_f16_e32 v60, v18, v20
	v_add_f16_e32 v27, v27, v60
	v_add_f16_e32 v60, v12, v20
	v_fma_f16 v60, v60, -0.5, v14
	v_add_f16_e32 v14, v14, v12
	v_add_f16_e32 v14, v14, v16
	v_add_f16_e32 v14, v14, v18
	v_add_f16_e32 v14, v14, v20
	v_sub_f16_e32 v12, v12, v20
	v_sub_f16_e32 v16, v16, v18
	;; [unrolled: 1-line block ×4, first 2 shown]
	v_fma_f16 v31, v31, v0, v75
	v_fma_f16 v61, v37, s14, v60
	;; [unrolled: 1-line block ×3, first 2 shown]
	v_add_f16_e32 v18, v18, v20
	v_add_f16_e32 v20, v34, v36
	v_fma_f16 v60, v33, s5, v61
	v_fma_f16 v33, v33, s4, v37
	v_fma_f16 v20, v20, -0.5, v31
	v_fma_f16 v37, v27, s16, v60
	v_fma_f16 v27, v27, s16, v33
	;; [unrolled: 1-line block ×8, first 2 shown]
	v_add_f16_e32 v20, v28, v38
	v_fma_f16 v20, v20, -0.5, v31
	v_add_f16_e32 v31, v31, v28
	v_add_f16_e32 v31, v31, v34
	v_sub_f16_e32 v28, v34, v28
	v_sub_f16_e32 v34, v36, v38
	v_add_f16_e32 v28, v28, v34
	v_fma_f16 v34, v16, s15, v20
	v_fma_f16 v16, v16, s14, v20
	;; [unrolled: 1-line block ×6, first 2 shown]
	v_mul_f16_e32 v28, 0xb8b4, v35
	v_mul_f16_e32 v34, 0xbb9c, v37
	;; [unrolled: 1-line block ×3, first 2 shown]
	v_fma_f16 v28, v33, s17, v28
	v_mul_f16_e32 v33, 0x3b9c, v16
	v_fma_f16 v16, v16, s16, v34
	v_mul_f16_e32 v34, 0x34f2, v27
	v_fma_f16 v34, v12, s15, -v34
	v_mul_f16_e32 v12, 0x34f2, v12
	v_fma_f16 v12, v27, s14, -v12
	v_mul_f16_e32 v27, 0x3a79, v19
	v_add_f16_e32 v31, v31, v36
	v_fma_f16 v27, v18, s5, -v27
	v_mul_f16_e32 v18, 0x3a79, v18
	v_add_f16_e32 v31, v31, v38
	v_fma_f16 v33, v37, s16, v33
	v_fma_f16 v18, v19, s4, -v18
	v_fma_f16 v20, v35, s17, v20
	v_add_f16_e32 v19, v41, v14
	v_sub_f16_e32 v14, v41, v14
	v_add_f16_e32 v36, v40, v33
	v_sub_f16_e32 v33, v40, v33
	;; [unrolled: 2-line block ×9, first 2 shown]
	v_mul_u32_u24_e32 v17, 30, v21
	v_add_f16_e32 v35, v59, v20
	v_sub_f16_e32 v20, v59, v20
	v_add_lshl_u32 v59, v17, v22, 2
	v_pack_b32_f16 v12, v34, v12
	v_pack_b32_f16 v14, v14, v31
	ds_write2_b32 v59, v12, v14 offset0:12 offset1:15
	v_pack_b32_f16 v12, v20, v39
	v_pack_b32_f16 v14, v33, v15
	;; [unrolled: 1-line block ×4, first 2 shown]
	ds_write2_b32 v59, v12, v14 offset0:18 offset1:21
	v_pack_b32_f16 v11, v13, v11
	v_pack_b32_f16 v12, v27, v28
	ds_write2_b32 v59, v17, v18 offset1:3
	v_pack_b32_f16 v17, v36, v40
	v_pack_b32_f16 v16, v37, v16
	ds_write2_b32 v59, v11, v12 offset0:24 offset1:27
	v_add_u32_e32 v11, 0x200, v43
	ds_write2_b32 v59, v17, v16 offset0:6 offset1:9
	s_waitcnt lgkmcnt(0)
	s_barrier
	ds_read2_b32 v[21:22], v43 offset1:81
	ds_read2_b32 v[19:20], v11 offset0:34 offset1:142
	ds_read2_b32 v[14:15], v30 offset0:28 offset1:109
	;; [unrolled: 1-line block ×3, first 2 shown]
	ds_read_b32 v18, v43 offset:2808
	v_lshrrev_b32_e32 v29, 16, v25
	s_and_saveexec_b64 s[4:5], s[0:1]
	s_cbranch_execz .LBB0_9
; %bb.8:
	ds_read_b32 v27, v43 offset:972
	ds_read_b32 v24, v43 offset:2052
	ds_read_b32 v25, v43 offset:3132
	s_waitcnt lgkmcnt(2)
	v_lshrrev_b32_e32 v28, 16, v27
	s_waitcnt lgkmcnt(1)
	v_lshrrev_b32_e32 v29, 16, v24
	;; [unrolled: 2-line block ×3, first 2 shown]
.LBB0_9:
	s_or_b64 exec, exec, s[4:5]
	s_movk_i32 s4, 0x89
	v_mul_lo_u16_sdwa v11, v52, s4 dst_sel:DWORD dst_unused:UNUSED_PAD src0_sel:BYTE_0 src1_sel:DWORD
	v_lshrrev_b16_e32 v60, 12, v11
	v_mul_lo_u16_e32 v11, 30, v60
	v_sub_u16_e32 v11, v52, v11
	v_and_b32_e32 v61, 0xff, v11
	v_lshlrev_b32_e32 v11, 3, v61
	global_load_dwordx2 v[11:12], v11, s[2:3] offset:108
	s_waitcnt lgkmcnt(3)
	v_lshrrev_b32_e32 v13, 16, v20
	s_waitcnt lgkmcnt(2)
	v_lshrrev_b32_e32 v31, 16, v14
	;; [unrolled: 2-line block ×3, first 2 shown]
	v_lshrrev_b32_e32 v34, 16, v15
	v_lshrrev_b32_e32 v36, 16, v17
	s_waitcnt lgkmcnt(0)
	v_lshrrev_b32_e32 v37, 16, v18
	v_lshrrev_b32_e32 v30, 16, v21
	s_mov_b32 s5, 0xbaee
	v_lshrrev_b32_e32 v32, 16, v22
	v_lshrrev_b32_e32 v35, 16, v19
	s_waitcnt vmcnt(0)
	v_mul_f16_sdwa v38, v13, v11 dst_sel:DWORD dst_unused:UNUSED_PAD src0_sel:DWORD src1_sel:WORD_1
	v_fma_f16 v38, v20, v11, -v38
	v_mul_f16_sdwa v20, v20, v11 dst_sel:DWORD dst_unused:UNUSED_PAD src0_sel:DWORD src1_sel:WORD_1
	v_fma_f16 v20, v13, v11, v20
	v_mul_f16_sdwa v13, v31, v12 dst_sel:DWORD dst_unused:UNUSED_PAD src0_sel:DWORD src1_sel:WORD_1
	v_fma_f16 v39, v14, v12, -v13
	v_mul_f16_sdwa v13, v14, v12 dst_sel:DWORD dst_unused:UNUSED_PAD src0_sel:DWORD src1_sel:WORD_1
	v_fma_f16 v31, v31, v12, v13
	v_mul_lo_u16_sdwa v13, v67, s4 dst_sel:DWORD dst_unused:UNUSED_PAD src0_sel:BYTE_0 src1_sel:DWORD
	v_lshrrev_b16_e32 v62, 12, v13
	v_mul_lo_u16_e32 v13, 30, v62
	v_sub_u16_e32 v13, v67, v13
	v_and_b32_e32 v63, 0xff, v13
	v_lshlrev_b32_e32 v13, 3, v63
	global_load_dwordx2 v[13:14], v13, s[2:3] offset:108
	v_add_f16_e32 v73, v38, v39
	s_waitcnt vmcnt(0)
	v_mul_f16_sdwa v40, v33, v13 dst_sel:DWORD dst_unused:UNUSED_PAD src0_sel:DWORD src1_sel:WORD_1
	v_fma_f16 v40, v16, v13, -v40
	v_mul_f16_sdwa v16, v16, v13 dst_sel:DWORD dst_unused:UNUSED_PAD src0_sel:DWORD src1_sel:WORD_1
	v_fma_f16 v33, v33, v13, v16
	v_mul_f16_sdwa v16, v34, v14 dst_sel:DWORD dst_unused:UNUSED_PAD src0_sel:DWORD src1_sel:WORD_1
	v_fma_f16 v41, v15, v14, -v16
	v_mul_f16_sdwa v15, v15, v14 dst_sel:DWORD dst_unused:UNUSED_PAD src0_sel:DWORD src1_sel:WORD_1
	v_fma_f16 v34, v34, v14, v15
	v_mul_lo_u16_sdwa v15, v66, s4 dst_sel:DWORD dst_unused:UNUSED_PAD src0_sel:BYTE_0 src1_sel:DWORD
	v_lshrrev_b16_e32 v68, 12, v15
	v_mul_lo_u16_e32 v15, 30, v68
	v_sub_u16_e32 v15, v66, v15
	v_and_b32_e32 v69, 0xff, v15
	v_lshlrev_b32_e32 v15, 3, v69
	global_load_dwordx2 v[15:16], v15, s[2:3] offset:108
	s_mov_b32 s4, 0x8889
	s_waitcnt vmcnt(0)
	v_mul_f16_sdwa v42, v36, v15 dst_sel:DWORD dst_unused:UNUSED_PAD src0_sel:DWORD src1_sel:WORD_1
	v_fma_f16 v42, v17, v15, -v42
	v_mul_f16_sdwa v17, v17, v15 dst_sel:DWORD dst_unused:UNUSED_PAD src0_sel:DWORD src1_sel:WORD_1
	v_fma_f16 v36, v36, v15, v17
	v_mul_f16_sdwa v17, v37, v16 dst_sel:DWORD dst_unused:UNUSED_PAD src0_sel:DWORD src1_sel:WORD_1
	v_fma_f16 v70, v18, v16, -v17
	v_mul_f16_sdwa v17, v18, v16 dst_sel:DWORD dst_unused:UNUSED_PAD src0_sel:DWORD src1_sel:WORD_1
	v_fma_f16 v37, v37, v16, v17
	v_mul_u32_u24_sdwa v17, v64, s4 dst_sel:DWORD dst_unused:UNUSED_PAD src0_sel:WORD_0 src1_sel:DWORD
	v_lshrrev_b32_e32 v17, 20, v17
	v_mul_lo_u16_e32 v17, 30, v17
	v_sub_u16_e32 v71, v64, v17
	v_lshlrev_b16_e32 v17, 3, v71
	v_add_co_u32_e32 v17, vcc, s2, v17
	v_mov_b32_e32 v18, s3
	v_addc_co_u32_e32 v18, vcc, 0, v18, vcc
	global_load_dwordx2 v[17:18], v[17:18], off offset:108
	s_movk_i32 s4, 0x3aee
	s_waitcnt vmcnt(0)
	s_barrier
	v_mul_f16_sdwa v72, v29, v17 dst_sel:DWORD dst_unused:UNUSED_PAD src0_sel:DWORD src1_sel:WORD_1
	v_fma_f16 v72, v24, v17, -v72
	v_mul_f16_sdwa v24, v24, v17 dst_sel:DWORD dst_unused:UNUSED_PAD src0_sel:DWORD src1_sel:WORD_1
	v_fma_f16 v24, v29, v17, v24
	v_mul_f16_sdwa v29, v26, v18 dst_sel:DWORD dst_unused:UNUSED_PAD src0_sel:DWORD src1_sel:WORD_1
	v_fma_f16 v29, v25, v18, -v29
	v_mul_f16_sdwa v25, v25, v18 dst_sel:DWORD dst_unused:UNUSED_PAD src0_sel:DWORD src1_sel:WORD_1
	v_fma_f16 v25, v26, v18, v25
	v_add_f16_e32 v26, v21, v38
	v_fma_f16 v21, v73, -0.5, v21
	v_sub_f16_e32 v73, v20, v31
	v_fma_f16 v74, v73, s4, v21
	v_fma_f16 v21, v73, s5, v21
	v_add_f16_e32 v73, v30, v20
	v_add_f16_e32 v20, v20, v31
	v_fma_f16 v20, v20, -0.5, v30
	v_sub_f16_e32 v30, v38, v39
	v_add_f16_e32 v38, v40, v41
	v_add_f16_e32 v73, v73, v31
	v_fma_f16 v31, v30, s5, v20
	v_fma_f16 v20, v30, s4, v20
	v_add_f16_e32 v30, v22, v40
	v_fma_f16 v22, v38, -0.5, v22
	v_sub_f16_e32 v38, v33, v34
	v_fma_f16 v75, v38, s4, v22
	v_fma_f16 v22, v38, s5, v22
	v_add_f16_e32 v38, v32, v33
	v_add_f16_e32 v33, v33, v34
	;; [unrolled: 1-line block ×3, first 2 shown]
	v_fma_f16 v32, v33, -0.5, v32
	v_sub_f16_e32 v33, v40, v41
	v_add_f16_e32 v38, v42, v70
	v_fma_f16 v34, v33, s5, v32
	v_fma_f16 v32, v33, s4, v32
	v_add_f16_e32 v33, v19, v42
	v_fma_f16 v19, v38, -0.5, v19
	v_sub_f16_e32 v38, v36, v37
	v_fma_f16 v77, v38, s4, v19
	v_fma_f16 v19, v38, s5, v19
	v_add_f16_e32 v38, v35, v36
	v_add_f16_e32 v36, v36, v37
	v_fma_f16 v35, v36, -0.5, v35
	v_sub_f16_e32 v36, v42, v70
	v_add_f16_e32 v33, v33, v70
	v_fma_f16 v70, v36, s5, v35
	v_fma_f16 v35, v36, s4, v35
	v_add_f16_e32 v36, v27, v72
	v_add_f16_e32 v78, v38, v37
	;; [unrolled: 1-line block ×4, first 2 shown]
	v_fma_f16 v27, v36, -0.5, v27
	v_sub_f16_e32 v36, v24, v25
	v_add_f16_e32 v26, v26, v39
	v_fma_f16 v39, v36, s4, v27
	v_fma_f16 v40, v36, s5, v27
	v_add_f16_e32 v27, v28, v24
	v_add_f16_e32 v24, v24, v25
	;; [unrolled: 1-line block ×3, first 2 shown]
	v_fma_f16 v24, v24, -0.5, v28
	v_sub_f16_e32 v25, v72, v29
	v_add_f16_e32 v30, v30, v41
	v_fma_f16 v41, v25, s5, v24
	v_fma_f16 v42, v25, s4, v24
	v_mul_u32_u24_e32 v24, 0x5a, v60
	v_add_lshl_u32 v61, v24, v61, 2
	v_pack_b32_f16 v20, v21, v20
	ds_write_b32 v61, v20 offset:240
	v_mul_u32_u24_e32 v20, 0x5a, v62
	v_pack_b32_f16 v24, v26, v73
	v_pack_b32_f16 v25, v74, v31
	v_add_lshl_u32 v62, v20, v63, 2
	v_pack_b32_f16 v20, v30, v76
	v_pack_b32_f16 v21, v75, v34
	ds_write2_b32 v61, v24, v25 offset1:30
	ds_write2_b32 v62, v20, v21 offset1:30
	v_pack_b32_f16 v20, v22, v32
	ds_write_b32 v62, v20 offset:240
	v_mul_u32_u24_e32 v20, 0x5a, v68
	v_add_lshl_u32 v63, v20, v69, 2
	v_pack_b32_f16 v20, v33, v78
	v_pack_b32_f16 v21, v77, v70
	;; [unrolled: 1-line block ×3, first 2 shown]
	v_lshlrev_b32_e32 v60, 2, v71
	ds_write2_b32 v63, v20, v21 offset1:30
	ds_write_b32 v63, v19 offset:240
	s_and_saveexec_b64 s[4:5], s[0:1]
	s_cbranch_execz .LBB0_11
; %bb.10:
	s_mov_b32 s14, 0x5040100
	v_perm_b32 v19, v38, v37, s14
	v_perm_b32 v20, v41, v39, s14
	v_add_u32_e32 v21, 0x800, v60
	ds_write2_b32 v21, v19, v20 offset0:208 offset1:238
	v_perm_b32 v19, v42, v40, s14
	ds_write_b32 v60, v19 offset:3120
.LBB0_11:
	s_or_b64 exec, exec, s[4:5]
	v_add_u32_e32 v19, 0x200, v43
	s_waitcnt lgkmcnt(0)
	s_barrier
	ds_read2_b32 v[27:28], v19 offset0:34 offset1:142
	v_add_u32_e32 v19, 0x800, v43
	ds_read2_b32 v[35:36], v19 offset0:28 offset1:109
	v_add_u32_e32 v19, 0x400, v43
	ds_read2_b32 v[29:30], v43 offset1:81
	ds_read2_b32 v[33:34], v19 offset0:95 offset1:176
	ds_read_b32 v68, v43 offset:2808
	s_and_saveexec_b64 s[4:5], s[0:1]
	s_cbranch_execz .LBB0_13
; %bb.12:
	ds_read_b32 v37, v43 offset:972
	ds_read_b32 v39, v43 offset:2052
	;; [unrolled: 1-line block ×3, first 2 shown]
	s_waitcnt lgkmcnt(2)
	v_lshrrev_b32_e32 v38, 16, v37
	s_waitcnt lgkmcnt(1)
	v_lshrrev_b32_e32 v41, 16, v39
	;; [unrolled: 2-line block ×3, first 2 shown]
.LBB0_13:
	s_or_b64 exec, exec, s[4:5]
	v_add_co_u32_e32 v21, vcc, -9, v52
	v_addc_co_u32_e64 v22, s[4:5], 0, -1, vcc
	v_cmp_gt_u16_e32 vcc, 9, v52
	s_movk_i32 s4, 0xb7
	v_cndmask_b32_e32 v70, v22, v23, vcc
	v_cndmask_b32_e32 v69, v21, v67, vcc
	v_mul_lo_u16_sdwa v23, v66, s4 dst_sel:DWORD dst_unused:UNUSED_PAD src0_sel:BYTE_0 src1_sel:DWORD
	v_lshlrev_b64 v[21:22], 3, v[69:70]
	v_lshrrev_b16_e32 v70, 14, v23
	v_mul_lo_u16_e32 v23, 0x5a, v70
	v_sub_u16_e32 v25, v66, v23
	s_movk_i32 s4, 0x2d83
	v_lshlrev_b32_e32 v31, 3, v52
	v_and_b32_e32 v77, 0xff, v25
	v_mul_u32_u24_sdwa v25, v64, s4 dst_sel:DWORD dst_unused:UNUSED_PAD src0_sel:WORD_0 src1_sel:DWORD
	global_load_dwordx2 v[19:20], v31, s[2:3] offset:348
	v_lshrrev_b32_e32 v25, 20, v25
	v_mul_lo_u16_e32 v25, 0x5a, v25
	v_mov_b32_e32 v32, s3
	v_add_co_u32_e32 v21, vcc, s2, v21
	v_sub_u16_e32 v78, v64, v25
	v_addc_co_u32_e32 v22, vcc, v32, v22, vcc
	global_load_dwordx2 v[23:24], v[21:22], off offset:348
	v_lshlrev_b16_e32 v25, 3, v78
	v_add_co_u32_e32 v25, vcc, s2, v25
	v_addc_co_u32_e32 v26, vcc, 0, v32, vcc
	global_load_dwordx2 v[25:26], v[25:26], off offset:348
	v_lshlrev_b32_e32 v21, 3, v77
	global_load_dwordx2 v[21:22], v21, s[2:3] offset:348
	s_waitcnt lgkmcnt(4)
	v_lshrrev_b32_e32 v72, 16, v28
	s_waitcnt lgkmcnt(3)
	v_lshrrev_b32_e32 v73, 16, v35
	;; [unrolled: 2-line block ×4, first 2 shown]
	s_movk_i32 s4, 0x3aee
	s_mov_b32 s5, 0xbaee
	v_lshrrev_b32_e32 v76, 16, v36
	v_lshrrev_b32_e32 v74, 16, v30
	;; [unrolled: 1-line block ×3, first 2 shown]
	s_waitcnt lgkmcnt(0)
	v_lshrrev_b32_e32 v81, 16, v68
	v_lshrrev_b32_e32 v79, 16, v27
	v_add_co_u32_e32 v31, vcc, s2, v31
	v_addc_co_u32_e32 v32, vcc, 0, v32, vcc
	s_waitcnt vmcnt(0)
	s_barrier
	v_cmp_lt_u16_e32 vcc, 8, v52
	v_mul_f16_sdwa v82, v72, v19 dst_sel:DWORD dst_unused:UNUSED_PAD src0_sel:DWORD src1_sel:WORD_1
	v_mul_f16_sdwa v84, v73, v20 dst_sel:DWORD dst_unused:UNUSED_PAD src0_sel:DWORD src1_sel:WORD_1
	;; [unrolled: 1-line block ×4, first 2 shown]
	v_fma_f16 v28, v28, v19, -v82
	v_fma_f16 v35, v35, v20, -v84
	v_fma_f16 v72, v72, v19, v83
	v_fma_f16 v73, v73, v20, v85
	v_add_f16_e32 v83, v28, v35
	v_add_f16_e32 v82, v29, v28
	v_sub_f16_e32 v84, v72, v73
	v_fma_f16 v29, v83, -0.5, v29
	v_add_f16_e32 v85, v71, v72
	v_fma_f16 v83, v84, s4, v29
	v_fma_f16 v29, v84, s5, v29
	v_mul_f16_sdwa v84, v75, v23 dst_sel:DWORD dst_unused:UNUSED_PAD src0_sel:DWORD src1_sel:WORD_1
	v_add_f16_e32 v72, v72, v73
	v_mul_f16_sdwa v86, v33, v23 dst_sel:DWORD dst_unused:UNUSED_PAD src0_sel:DWORD src1_sel:WORD_1
	v_mul_f16_sdwa v87, v76, v24 dst_sel:DWORD dst_unused:UNUSED_PAD src0_sel:DWORD src1_sel:WORD_1
	v_fma_f16 v33, v33, v23, -v84
	v_fma_f16 v71, v72, -0.5, v71
	v_sub_f16_e32 v28, v28, v35
	v_add_f16_e32 v82, v82, v35
	v_mul_f16_sdwa v88, v36, v24 dst_sel:DWORD dst_unused:UNUSED_PAD src0_sel:DWORD src1_sel:WORD_1
	v_fma_f16 v36, v36, v24, -v87
	v_mul_f16_sdwa v84, v41, v25 dst_sel:DWORD dst_unused:UNUSED_PAD src0_sel:DWORD src1_sel:WORD_1
	v_fma_f16 v35, v28, s5, v71
	v_fma_f16 v28, v28, s4, v71
	v_add_f16_e32 v71, v30, v33
	v_fma_f16 v75, v75, v23, v86
	v_fma_f16 v76, v76, v24, v88
	v_mul_f16_sdwa v86, v39, v25 dst_sel:DWORD dst_unused:UNUSED_PAD src0_sel:DWORD src1_sel:WORD_1
	v_fma_f16 v39, v39, v25, -v84
	v_add_f16_e32 v84, v85, v73
	v_add_f16_e32 v85, v71, v36
	;; [unrolled: 1-line block ×3, first 2 shown]
	v_fma_f16 v30, v71, -0.5, v30
	v_sub_f16_e32 v71, v75, v76
	v_mul_f16_sdwa v87, v42, v26 dst_sel:DWORD dst_unused:UNUSED_PAD src0_sel:DWORD src1_sel:WORD_1
	v_fma_f16 v41, v41, v25, v86
	v_fma_f16 v86, v71, s4, v30
	;; [unrolled: 1-line block ×3, first 2 shown]
	v_add_f16_e32 v71, v74, v75
	v_mul_f16_sdwa v89, v80, v21 dst_sel:DWORD dst_unused:UNUSED_PAD src0_sel:DWORD src1_sel:WORD_1
	v_mul_f16_sdwa v88, v40, v26 dst_sel:DWORD dst_unused:UNUSED_PAD src0_sel:DWORD src1_sel:WORD_1
	v_fma_f16 v40, v40, v26, -v87
	v_add_f16_e32 v87, v71, v76
	v_add_f16_e32 v71, v75, v76
	v_mul_f16_sdwa v90, v34, v21 dst_sel:DWORD dst_unused:UNUSED_PAD src0_sel:DWORD src1_sel:WORD_1
	v_mul_f16_sdwa v91, v81, v22 dst_sel:DWORD dst_unused:UNUSED_PAD src0_sel:DWORD src1_sel:WORD_1
	v_fma_f16 v34, v34, v21, -v89
	v_fma_f16 v71, v71, -0.5, v74
	v_sub_f16_e32 v33, v33, v36
	v_mul_f16_sdwa v92, v68, v22 dst_sel:DWORD dst_unused:UNUSED_PAD src0_sel:DWORD src1_sel:WORD_1
	v_fma_f16 v68, v68, v22, -v91
	v_fma_f16 v36, v33, s5, v71
	v_fma_f16 v33, v33, s4, v71
	v_add_f16_e32 v71, v27, v34
	v_fma_f16 v80, v80, v21, v90
	v_fma_f16 v81, v81, v22, v92
	v_fma_f16 v42, v42, v26, v88
	v_add_f16_e32 v88, v71, v68
	v_add_f16_e32 v71, v34, v68
	v_fma_f16 v27, v71, -0.5, v27
	v_sub_f16_e32 v71, v80, v81
	v_fma_f16 v89, v71, s4, v27
	v_fma_f16 v27, v71, s5, v27
	v_add_f16_e32 v71, v79, v80
	v_add_f16_e32 v90, v71, v81
	v_add_f16_e32 v71, v80, v81
	v_fma_f16 v71, v71, -0.5, v79
	v_sub_f16_e32 v34, v34, v68
	v_fma_f16 v68, v34, s5, v71
	v_fma_f16 v34, v34, s4, v71
	v_add_f16_e32 v71, v37, v39
	;; [unrolled: 7-line block ×3, first 2 shown]
	v_pack_b32_f16 v28, v29, v28
	v_add_f16_e32 v75, v37, v42
	v_add_f16_e32 v37, v41, v42
	ds_write_b32 v43, v28 offset:720
	v_mov_b32_e32 v28, 0x10e
	v_fma_f16 v37, v37, -0.5, v38
	v_sub_f16_e32 v38, v39, v40
	v_cndmask_b32_e32 v28, 0, v28, vcc
	v_fma_f16 v74, v38, s5, v37
	v_fma_f16 v76, v38, s4, v37
	v_pack_b32_f16 v37, v82, v84
	v_pack_b32_f16 v35, v83, v35
	v_add_lshl_u32 v69, v69, v28, 2
	v_pack_b32_f16 v28, v85, v87
	v_pack_b32_f16 v29, v86, v36
	ds_write2_b32 v43, v37, v35 offset1:90
	ds_write2_b32 v69, v28, v29 offset1:90
	v_pack_b32_f16 v28, v30, v33
	ds_write_b32 v69, v28 offset:720
	v_mul_u32_u24_e32 v28, 0x10e, v70
	v_add_lshl_u32 v70, v28, v77, 2
	v_pack_b32_f16 v28, v88, v90
	v_pack_b32_f16 v29, v89, v68
	;; [unrolled: 1-line block ×3, first 2 shown]
	v_lshlrev_b32_e32 v68, 2, v78
	ds_write2_b32 v70, v28, v29 offset1:90
	ds_write_b32 v70, v27 offset:720
	s_and_saveexec_b64 s[4:5], s[0:1]
	s_cbranch_execz .LBB0_15
; %bb.14:
	s_mov_b32 s14, 0x5040100
	v_perm_b32 v27, v75, v72, s14
	v_perm_b32 v28, v74, v71, s14
	v_add_u32_e32 v29, 0x800, v68
	ds_write2_b32 v29, v27, v28 offset0:28 offset1:118
	v_perm_b32 v27, v76, v73, s14
	ds_write_b32 v68, v27 offset:2880
.LBB0_15:
	s_or_b64 exec, exec, s[4:5]
	v_add_u32_e32 v27, 0x200, v43
	v_add_u32_e32 v77, 0x800, v43
	;; [unrolled: 1-line block ×3, first 2 shown]
	s_waitcnt lgkmcnt(0)
	s_barrier
	ds_read2_b32 v[37:38], v43 offset1:81
	ds_read2_b32 v[35:36], v27 offset0:34 offset1:142
	ds_read2_b32 v[39:40], v77 offset0:28 offset1:109
	;; [unrolled: 1-line block ×3, first 2 shown]
	ds_read_b32 v79, v43 offset:2808
	s_and_saveexec_b64 s[4:5], s[0:1]
	s_cbranch_execz .LBB0_17
; %bb.16:
	ds_read_b32 v72, v43 offset:972
	ds_read_b32 v71, v43 offset:2052
	;; [unrolled: 1-line block ×3, first 2 shown]
	s_waitcnt lgkmcnt(2)
	v_lshrrev_b32_e32 v75, 16, v72
	s_waitcnt lgkmcnt(1)
	v_lshrrev_b32_e32 v74, 16, v71
	;; [unrolled: 2-line block ×3, first 2 shown]
.LBB0_17:
	s_or_b64 exec, exec, s[4:5]
	v_lshlrev_b32_e32 v27, 3, v67
	global_load_dwordx2 v[29:30], v[31:32], off offset:1068
	s_movk_i32 s4, 0xffe5
	global_load_dwordx2 v[31:32], v27, s[2:3] offset:1068
	v_lshlrev_b32_e32 v27, 3, v66
	global_load_dwordx2 v[33:34], v27, s[2:3] offset:1068
	v_add_co_u32_e32 v27, vcc, s4, v52
	v_addc_co_u32_e64 v28, s[4:5], 0, -1, vcc
	v_cndmask_b32_e64 v28, v28, v65, s[0:1]
	v_cndmask_b32_e64 v27, v27, v64, s[0:1]
	v_lshlrev_b64 v[27:28], 3, v[27:28]
	v_mov_b32_e32 v66, s3
	v_add_co_u32_e32 v27, vcc, s2, v27
	v_addc_co_u32_e32 v28, vcc, v66, v28, vcc
	global_load_dwordx2 v[27:28], v[27:28], off offset:1068
	s_waitcnt lgkmcnt(3)
	v_lshrrev_b32_e32 v65, 16, v36
	s_waitcnt lgkmcnt(2)
	v_lshrrev_b32_e32 v66, 16, v39
	;; [unrolled: 2-line block ×3, first 2 shown]
	v_lshrrev_b32_e32 v81, 16, v40
	v_lshrrev_b32_e32 v64, 16, v37
	;; [unrolled: 1-line block ×4, first 2 shown]
	s_waitcnt lgkmcnt(0)
	v_lshrrev_b32_e32 v84, 16, v79
	s_movk_i32 s2, 0x3aee
	s_mov_b32 s3, 0xbaee
	v_lshrrev_b32_e32 v82, 16, v35
	s_waitcnt vmcnt(3)
	v_mul_f16_sdwa v85, v65, v29 dst_sel:DWORD dst_unused:UNUSED_PAD src0_sel:DWORD src1_sel:WORD_1
	v_mul_f16_sdwa v86, v36, v29 dst_sel:DWORD dst_unused:UNUSED_PAD src0_sel:DWORD src1_sel:WORD_1
	;; [unrolled: 1-line block ×4, first 2 shown]
	v_fma_f16 v36, v36, v29, -v85
	v_fma_f16 v65, v65, v29, v86
	v_fma_f16 v39, v39, v30, -v87
	v_fma_f16 v66, v66, v30, v88
	s_waitcnt vmcnt(2)
	v_mul_f16_sdwa v85, v80, v31 dst_sel:DWORD dst_unused:UNUSED_PAD src0_sel:DWORD src1_sel:WORD_1
	v_mul_f16_sdwa v86, v41, v31 dst_sel:DWORD dst_unused:UNUSED_PAD src0_sel:DWORD src1_sel:WORD_1
	;; [unrolled: 1-line block ×4, first 2 shown]
	v_fma_f16 v41, v41, v31, -v85
	v_fma_f16 v80, v80, v31, v86
	v_fma_f16 v40, v40, v32, -v87
	v_fma_f16 v81, v81, v32, v88
	v_add_f16_e32 v85, v37, v36
	v_add_f16_e32 v86, v36, v39
	v_sub_f16_e32 v87, v65, v66
	v_add_f16_e32 v88, v64, v65
	v_add_f16_e32 v65, v65, v66
	s_waitcnt vmcnt(1)
	v_mul_f16_sdwa v89, v83, v33 dst_sel:DWORD dst_unused:UNUSED_PAD src0_sel:DWORD src1_sel:WORD_1
	v_mul_f16_sdwa v91, v84, v34 dst_sel:DWORD dst_unused:UNUSED_PAD src0_sel:DWORD src1_sel:WORD_1
	v_sub_f16_e32 v36, v36, v39
	v_add_f16_e32 v39, v85, v39
	v_fma_f16 v37, v86, -0.5, v37
	v_add_f16_e32 v66, v88, v66
	v_fma_f16 v64, v65, -0.5, v64
	v_add_f16_e32 v65, v38, v41
	v_add_f16_e32 v85, v41, v40
	v_sub_f16_e32 v86, v80, v81
	v_add_f16_e32 v88, v67, v80
	v_add_f16_e32 v80, v80, v81
	v_mul_f16_sdwa v90, v42, v33 dst_sel:DWORD dst_unused:UNUSED_PAD src0_sel:DWORD src1_sel:WORD_1
	v_mul_f16_sdwa v92, v79, v34 dst_sel:DWORD dst_unused:UNUSED_PAD src0_sel:DWORD src1_sel:WORD_1
	v_fma_f16 v42, v42, v33, -v89
	v_fma_f16 v79, v79, v34, -v91
	v_sub_f16_e32 v41, v41, v40
	v_add_f16_e32 v40, v65, v40
	v_fma_f16 v38, v85, -0.5, v38
	v_fma_f16 v65, v80, -0.5, v67
	s_waitcnt vmcnt(0)
	v_mul_f16_sdwa v80, v74, v27 dst_sel:DWORD dst_unused:UNUSED_PAD src0_sel:DWORD src1_sel:WORD_1
	v_fma_f16 v83, v83, v33, v90
	v_fma_f16 v84, v84, v34, v92
	;; [unrolled: 1-line block ×6, first 2 shown]
	v_add_f16_e32 v64, v88, v81
	v_fma_f16 v67, v86, s2, v38
	v_fma_f16 v38, v86, s3, v38
	v_mul_f16_sdwa v81, v71, v27 dst_sel:DWORD dst_unused:UNUSED_PAD src0_sel:DWORD src1_sel:WORD_1
	v_mul_f16_sdwa v86, v73, v28 dst_sel:DWORD dst_unused:UNUSED_PAD src0_sel:DWORD src1_sel:WORD_1
	v_fma_f16 v80, v71, v27, -v80
	v_add_f16_e32 v71, v42, v79
	v_mul_f16_sdwa v85, v76, v28 dst_sel:DWORD dst_unused:UNUSED_PAD src0_sel:DWORD src1_sel:WORD_1
	v_fma_f16 v76, v76, v28, v86
	v_fma_f16 v86, v41, s3, v65
	v_fma_f16 v41, v41, s2, v65
	v_add_f16_e32 v65, v35, v42
	v_fma_f16 v35, v71, -0.5, v35
	v_sub_f16_e32 v71, v83, v84
	v_fma_f16 v85, v73, v28, -v85
	v_fma_f16 v88, v71, s2, v35
	v_fma_f16 v35, v71, s3, v35
	v_add_f16_e32 v71, v82, v83
	v_fma_f16 v81, v74, v27, v81
	v_add_f16_e32 v90, v71, v84
	v_add_f16_e32 v71, v83, v84
	;; [unrolled: 1-line block ×3, first 2 shown]
	v_fma_f16 v71, v71, -0.5, v82
	v_sub_f16_e32 v42, v42, v79
	v_fma_f16 v73, v73, -0.5, v72
	v_sub_f16_e32 v74, v81, v76
	v_add_f16_e32 v65, v65, v79
	v_fma_f16 v79, v42, s3, v71
	v_fma_f16 v42, v42, s2, v71
	v_add_f16_e32 v71, v72, v80
	v_fma_f16 v72, v74, s2, v73
	v_fma_f16 v73, v74, s3, v73
	v_add_f16_e32 v74, v75, v81
	v_add_f16_e32 v74, v74, v76
	;; [unrolled: 1-line block ×3, first 2 shown]
	v_pack_b32_f16 v36, v37, v36
	v_fma_f16 v76, v76, -0.5, v75
	v_sub_f16_e32 v80, v80, v85
	v_pack_b32_f16 v39, v39, v66
	v_pack_b32_f16 v66, v89, v87
	ds_write_b32 v43, v36 offset:2160
	v_pack_b32_f16 v36, v40, v64
	v_pack_b32_f16 v37, v38, v41
	v_pack_b32_f16 v38, v65, v90
	v_add_f16_e32 v71, v71, v85
	v_fma_f16 v75, v80, s3, v76
	v_fma_f16 v76, v80, s2, v76
	ds_write_b32 v43, v66 offset:1080
	ds_write2_b32 v43, v39, v36 offset1:81
	v_pack_b32_f16 v36, v67, v86
	ds_write_b32 v43, v38 offset:648
	v_pack_b32_f16 v38, v88, v79
	v_pack_b32_f16 v35, v35, v42
	ds_write2_b32 v78, v36, v38 offset0:95 offset1:176
	ds_write2_b32 v77, v37, v35 offset0:109 offset1:190
	s_and_saveexec_b64 s[2:3], s[0:1]
	s_cbranch_execz .LBB0_19
; %bb.18:
	s_mov_b32 s4, 0x5040100
	v_perm_b32 v35, v74, v71, s4
	ds_write_b32 v43, v35 offset:972
	v_perm_b32 v35, v75, v72, s4
	ds_write_b32 v43, v35 offset:2052
	;; [unrolled: 2-line block ×3, first 2 shown]
.LBB0_19:
	s_or_b64 exec, exec, s[2:3]
	s_waitcnt lgkmcnt(0)
	s_barrier
	global_load_dword v36, v[8:9], off offset:3240
	s_add_u32 s2, s12, 0xca8
	s_addc_u32 s3, s13, 0
	global_load_dword v41, v43, s[2:3] offset:324
	global_load_dword v42, v43, s[2:3] offset:2808
	;; [unrolled: 1-line block ×8, first 2 shown]
	ds_read2_b32 v[39:40], v43 offset1:81
	ds_read_b32 v64, v43 offset:2808
	v_add_u32_e32 v35, 0x200, v43
	v_add_u32_e32 v38, 0x400, v43
	;; [unrolled: 1-line block ×3, first 2 shown]
	s_waitcnt lgkmcnt(1)
	v_lshrrev_b32_e32 v65, 16, v39
	v_lshrrev_b32_e32 v82, 16, v40
	s_waitcnt lgkmcnt(0)
	v_lshrrev_b32_e32 v83, 16, v64
	v_add_u32_e32 v81, 0x600, v43
	s_waitcnt vmcnt(8)
	v_mul_f16_sdwa v84, v65, v36 dst_sel:DWORD dst_unused:UNUSED_PAD src0_sel:DWORD src1_sel:WORD_1
	v_mul_f16_sdwa v85, v39, v36 dst_sel:DWORD dst_unused:UNUSED_PAD src0_sel:DWORD src1_sel:WORD_1
	v_fma_f16 v39, v39, v36, -v84
	v_fma_f16 v36, v65, v36, v85
	v_pack_b32_f16 v36, v39, v36
	s_waitcnt vmcnt(7)
	v_mul_f16_sdwa v39, v82, v41 dst_sel:DWORD dst_unused:UNUSED_PAD src0_sel:DWORD src1_sel:WORD_1
	v_mul_f16_sdwa v65, v40, v41 dst_sel:DWORD dst_unused:UNUSED_PAD src0_sel:DWORD src1_sel:WORD_1
	s_waitcnt vmcnt(6)
	v_mul_f16_sdwa v84, v83, v42 dst_sel:DWORD dst_unused:UNUSED_PAD src0_sel:DWORD src1_sel:WORD_1
	v_mul_f16_sdwa v85, v64, v42 dst_sel:DWORD dst_unused:UNUSED_PAD src0_sel:DWORD src1_sel:WORD_1
	ds_write_b32 v43, v36
	v_fma_f16 v36, v40, v41, -v39
	v_fma_f16 v65, v82, v41, v65
	v_fma_f16 v82, v64, v42, -v84
	v_fma_f16 v83, v83, v42, v85
	ds_read2_b32 v[39:40], v35 offset0:34 offset1:142
	ds_read2_b32 v[41:42], v37 offset0:28 offset1:109
	v_pack_b32_f16 v36, v36, v65
	ds_read2_b32 v[64:65], v38 offset0:95 offset1:176
	v_pack_b32_f16 v82, v82, v83
	s_waitcnt lgkmcnt(2)
	v_lshrrev_b32_e32 v83, 16, v40
	s_waitcnt vmcnt(5)
	v_mul_f16_sdwa v84, v40, v66 dst_sel:DWORD dst_unused:UNUSED_PAD src0_sel:DWORD src1_sel:WORD_1
	s_waitcnt lgkmcnt(1)
	v_lshrrev_b32_e32 v85, 16, v41
	s_waitcnt vmcnt(4)
	v_mul_f16_sdwa v86, v41, v67 dst_sel:DWORD dst_unused:UNUSED_PAD src0_sel:DWORD src1_sel:WORD_1
	;; [unrolled: 4-line block ×3, first 2 shown]
	v_lshrrev_b32_e32 v89, 16, v42
	s_waitcnt vmcnt(2)
	v_mul_f16_sdwa v90, v42, v78 dst_sel:DWORD dst_unused:UNUSED_PAD src0_sel:DWORD src1_sel:WORD_1
	v_lshrrev_b32_e32 v91, 16, v39
	s_waitcnt vmcnt(0)
	v_mul_f16_sdwa v92, v39, v80 dst_sel:DWORD dst_unused:UNUSED_PAD src0_sel:DWORD src1_sel:WORD_1
	v_lshrrev_b32_e32 v93, 16, v65
	v_mul_f16_sdwa v95, v83, v66 dst_sel:DWORD dst_unused:UNUSED_PAD src0_sel:DWORD src1_sel:WORD_1
	v_fma_f16 v83, v83, v66, v84
	v_mul_f16_sdwa v84, v85, v67 dst_sel:DWORD dst_unused:UNUSED_PAD src0_sel:DWORD src1_sel:WORD_1
	v_fma_f16 v85, v85, v67, v86
	v_mul_f16_sdwa v86, v87, v77 dst_sel:DWORD dst_unused:UNUSED_PAD src0_sel:DWORD src1_sel:WORD_1
	v_mul_f16_sdwa v94, v65, v79 dst_sel:DWORD dst_unused:UNUSED_PAD src0_sel:DWORD src1_sel:WORD_1
	v_fma_f16 v87, v87, v77, v88
	v_mul_f16_sdwa v88, v89, v78 dst_sel:DWORD dst_unused:UNUSED_PAD src0_sel:DWORD src1_sel:WORD_1
	v_fma_f16 v89, v89, v78, v90
	;; [unrolled: 2-line block ×3, first 2 shown]
	v_mul_f16_sdwa v92, v93, v79 dst_sel:DWORD dst_unused:UNUSED_PAD src0_sel:DWORD src1_sel:WORD_1
	v_fma_f16 v40, v40, v66, -v95
	v_fma_f16 v64, v64, v77, -v86
	v_fma_f16 v93, v93, v79, v94
	v_fma_f16 v41, v41, v67, -v84
	v_fma_f16 v42, v42, v78, -v88
	;; [unrolled: 1-line block ×4, first 2 shown]
	v_pack_b32_f16 v40, v40, v83
	v_pack_b32_f16 v64, v64, v87
	;; [unrolled: 1-line block ×6, first 2 shown]
	ds_write2_b32 v38, v40, v64 offset0:14 offset1:95
	ds_write2_b32 v43, v36, v39 offset0:81 offset1:162
	;; [unrolled: 1-line block ×4, first 2 shown]
	s_and_saveexec_b64 s[4:5], s[0:1]
	s_cbranch_execz .LBB0_21
; %bb.20:
	v_mov_b32_e32 v36, s3
	v_add_co_u32_e32 v39, vcc, s2, v43
	v_addc_co_u32_e32 v40, vcc, 0, v36, vcc
	global_load_dword v36, v[39:40], off offset:972
	global_load_dword v41, v[39:40], off offset:2052
	;; [unrolled: 1-line block ×3, first 2 shown]
	ds_read_b32 v39, v43 offset:972
	ds_read_b32 v40, v43 offset:2052
	;; [unrolled: 1-line block ×3, first 2 shown]
	s_waitcnt lgkmcnt(2)
	v_lshrrev_b32_e32 v65, 16, v39
	s_waitcnt lgkmcnt(1)
	v_lshrrev_b32_e32 v66, 16, v40
	;; [unrolled: 2-line block ×3, first 2 shown]
	s_waitcnt vmcnt(2)
	v_mul_f16_sdwa v77, v65, v36 dst_sel:DWORD dst_unused:UNUSED_PAD src0_sel:DWORD src1_sel:WORD_1
	v_mul_f16_sdwa v78, v39, v36 dst_sel:DWORD dst_unused:UNUSED_PAD src0_sel:DWORD src1_sel:WORD_1
	s_waitcnt vmcnt(1)
	v_mul_f16_sdwa v79, v66, v41 dst_sel:DWORD dst_unused:UNUSED_PAD src0_sel:DWORD src1_sel:WORD_1
	v_mul_f16_sdwa v80, v40, v41 dst_sel:DWORD dst_unused:UNUSED_PAD src0_sel:DWORD src1_sel:WORD_1
	;; [unrolled: 3-line block ×3, first 2 shown]
	v_fma_f16 v39, v39, v36, -v77
	v_fma_f16 v36, v65, v36, v78
	v_fma_f16 v40, v40, v41, -v79
	v_fma_f16 v41, v66, v41, v80
	;; [unrolled: 2-line block ×3, first 2 shown]
	v_pack_b32_f16 v36, v39, v36
	v_pack_b32_f16 v39, v40, v41
	;; [unrolled: 1-line block ×3, first 2 shown]
	ds_write_b32 v43, v36 offset:972
	ds_write_b32 v43, v39 offset:2052
	;; [unrolled: 1-line block ×3, first 2 shown]
.LBB0_21:
	s_or_b64 exec, exec, s[4:5]
	s_waitcnt lgkmcnt(0)
	s_barrier
	ds_read2_b32 v[39:40], v43 offset1:81
	ds_read2_b32 v[35:36], v35 offset0:34 offset1:142
	ds_read2_b32 v[41:42], v37 offset0:28 offset1:109
	;; [unrolled: 1-line block ×3, first 2 shown]
	ds_read_b32 v77, v43 offset:2808
	s_and_saveexec_b64 s[2:3], s[0:1]
	s_cbranch_execz .LBB0_23
; %bb.22:
	ds_read_b32 v71, v43 offset:972
	ds_read_b32 v72, v43 offset:2052
	;; [unrolled: 1-line block ×3, first 2 shown]
	s_waitcnt lgkmcnt(2)
	v_lshrrev_b32_e32 v74, 16, v71
	s_waitcnt lgkmcnt(1)
	v_lshrrev_b32_e32 v75, 16, v72
	s_waitcnt lgkmcnt(0)
	v_lshrrev_b32_e32 v76, 16, v73
.LBB0_23:
	s_or_b64 exec, exec, s[2:3]
	v_add_f16_e32 v64, v72, v73
	v_fma_f16 v65, v64, -0.5, v71
	v_sub_f16_e32 v66, v75, v76
	s_mov_b32 s2, 0xbaee
	s_movk_i32 s3, 0x3aee
	v_fma_f16 v64, v66, s2, v65
	v_fma_f16 v65, v66, s3, v65
	v_add_f16_e32 v66, v75, v76
	v_fma_f16 v66, v66, -0.5, v74
	v_sub_f16_e32 v81, v72, v73
	s_waitcnt lgkmcnt(3)
	v_pk_add_f16 v78, v39, v36
	v_fma_f16 v67, v81, s3, v66
	v_fma_f16 v66, v81, s2, v66
	s_waitcnt lgkmcnt(2)
	v_pk_add_f16 v81, v36, v41
	v_pk_add_f16 v36, v36, v41 neg_lo:[0,1] neg_hi:[0,1]
	v_pk_fma_f16 v39, v81, 0.5, v39 op_sel_hi:[1,0,1] neg_lo:[1,0,0] neg_hi:[1,0,0]
	v_pk_mul_f16 v36, v36, s3 op_sel_hi:[1,0]
	v_pk_add_f16 v78, v78, v41
	v_pk_add_f16 v41, v39, v36 op_sel:[0,1] op_sel_hi:[1,0] neg_lo:[0,1] neg_hi:[0,1]
	v_pk_add_f16 v36, v39, v36 op_sel:[0,1] op_sel_hi:[1,0]
	s_mov_b32 s2, 0xffff
	v_bfi_b32 v39, s2, v41, v36
	s_waitcnt lgkmcnt(1)
	v_pk_add_f16 v79, v40, v37
	s_waitcnt lgkmcnt(0)
	s_barrier
	ds_write2_b32 v54, v78, v39 offset1:1
	v_pk_add_f16 v39, v37, v42
	v_pk_add_f16 v37, v37, v42 neg_lo:[0,1] neg_hi:[0,1]
	v_pk_fma_f16 v39, v39, 0.5, v40 op_sel_hi:[1,0,1] neg_lo:[1,0,0] neg_hi:[1,0,0]
	v_pk_mul_f16 v37, v37, s3 op_sel_hi:[1,0]
	v_bfi_b32 v36, s2, v36, v41
	v_pk_add_f16 v40, v39, v37 op_sel:[0,1] op_sel_hi:[1,0] neg_lo:[0,1] neg_hi:[0,1]
	v_pk_add_f16 v37, v39, v37 op_sel:[0,1] op_sel_hi:[1,0]
	ds_write_b32 v54, v36 offset:8
	v_pk_add_f16 v36, v79, v42
	v_bfi_b32 v39, s2, v40, v37
	ds_write2_b32 v55, v36, v39 offset1:1
	v_bfi_b32 v36, s2, v37, v40
	v_pk_add_f16 v37, v38, v77
	v_pk_add_f16 v80, v35, v38
	v_pk_fma_f16 v35, v37, 0.5, v35 op_sel_hi:[1,0,1] neg_lo:[1,0,0] neg_hi:[1,0,0]
	v_pk_add_f16 v37, v38, v77 neg_lo:[0,1] neg_hi:[0,1]
	v_pk_mul_f16 v37, v37, s3 op_sel_hi:[1,0]
	v_pk_add_f16 v38, v35, v37 op_sel:[0,1] op_sel_hi:[1,0] neg_lo:[0,1] neg_hi:[0,1]
	v_pk_add_f16 v35, v35, v37 op_sel:[0,1] op_sel_hi:[1,0]
	ds_write_b32 v55, v36 offset:8
	v_pk_add_f16 v36, v80, v77
	v_bfi_b32 v37, s2, v38, v35
	v_bfi_b32 v35, s2, v35, v38
	ds_write2_b32 v56, v36, v37 offset1:1
	ds_write_b32 v56, v35 offset:8
	s_and_saveexec_b64 s[2:3], s[0:1]
	s_cbranch_execz .LBB0_25
; %bb.24:
	v_add_f16_e32 v35, v74, v75
	v_add_f16_e32 v36, v71, v72
	;; [unrolled: 1-line block ×4, first 2 shown]
	s_mov_b32 s4, 0x5040100
	v_lshlrev_b32_e32 v37, 2, v57
	v_perm_b32 v38, v67, v64, s4
	v_pack_b32_f16 v35, v36, v35
	ds_write2_b32 v37, v35, v38 offset1:1
	v_perm_b32 v35, v66, v65, s4
	ds_write_b32 v37, v35 offset:8
.LBB0_25:
	s_or_b64 exec, exec, s[2:3]
	s_waitcnt lgkmcnt(0)
	s_barrier
	ds_read2_b32 v[35:36], v43 offset1:81
	ds_read2_b32 v[37:38], v43 offset0:162 offset1:243
	v_add_u32_e32 v73, 0x400, v43
	ds_read2_b32 v[39:40], v73 offset0:68 offset1:149
	v_add_u32_e32 v41, 0x600, v43
	s_waitcnt lgkmcnt(2)
	v_lshrrev_b32_e32 v57, 16, v36
	v_mul_f16_sdwa v81, v0, v57 dst_sel:DWORD dst_unused:UNUSED_PAD src0_sel:WORD_1 src1_sel:DWORD
	s_waitcnt lgkmcnt(1)
	v_lshrrev_b32_e32 v71, 16, v37
	v_fma_f16 v81, v0, v36, v81
	v_mul_f16_sdwa v36, v0, v36 dst_sel:DWORD dst_unused:UNUSED_PAD src0_sel:WORD_1 src1_sel:DWORD
	v_fma_f16 v0, v0, v57, -v36
	v_mul_f16_sdwa v36, v1, v71 dst_sel:DWORD dst_unused:UNUSED_PAD src0_sel:WORD_1 src1_sel:DWORD
	v_lshrrev_b32_e32 v72, 16, v38
	v_fma_f16 v36, v1, v37, v36
	v_mul_f16_sdwa v37, v1, v37 dst_sel:DWORD dst_unused:UNUSED_PAD src0_sel:WORD_1 src1_sel:DWORD
	ds_read2_b32 v[41:42], v41 offset0:102 offset1:183
	v_fma_f16 v1, v1, v71, -v37
	v_mul_f16_sdwa v37, v2, v72 dst_sel:DWORD dst_unused:UNUSED_PAD src0_sel:WORD_1 src1_sel:DWORD
	s_waitcnt lgkmcnt(1)
	v_lshrrev_b32_e32 v75, 16, v39
	v_fma_f16 v37, v2, v38, v37
	v_mul_f16_sdwa v38, v2, v38 dst_sel:DWORD dst_unused:UNUSED_PAD src0_sel:WORD_1 src1_sel:DWORD
	v_fma_f16 v2, v2, v72, -v38
	v_mul_f16_sdwa v38, v3, v75 dst_sel:DWORD dst_unused:UNUSED_PAD src0_sel:WORD_1 src1_sel:DWORD
	v_add_u32_e32 v74, 0x800, v43
	v_lshrrev_b32_e32 v76, 16, v40
	v_fma_f16 v38, v3, v39, v38
	v_mul_f16_sdwa v39, v3, v39 dst_sel:DWORD dst_unused:UNUSED_PAD src0_sel:WORD_1 src1_sel:DWORD
	ds_read2_b32 v[54:55], v74 offset0:136 offset1:217
	v_fma_f16 v3, v3, v75, -v39
	v_mul_f16_sdwa v39, v4, v76 dst_sel:DWORD dst_unused:UNUSED_PAD src0_sel:WORD_1 src1_sel:DWORD
	s_waitcnt lgkmcnt(1)
	v_lshrrev_b32_e32 v77, 16, v41
	v_fma_f16 v39, v4, v40, v39
	v_mul_f16_sdwa v40, v4, v40 dst_sel:DWORD dst_unused:UNUSED_PAD src0_sel:WORD_1 src1_sel:DWORD
	v_fma_f16 v4, v4, v76, -v40
	v_mul_f16_sdwa v40, v5, v77 dst_sel:DWORD dst_unused:UNUSED_PAD src0_sel:WORD_1 src1_sel:DWORD
	v_lshrrev_b32_e32 v78, 16, v42
	v_fma_f16 v40, v5, v41, v40
	v_mul_f16_sdwa v41, v5, v41 dst_sel:DWORD dst_unused:UNUSED_PAD src0_sel:WORD_1 src1_sel:DWORD
	v_fma_f16 v5, v5, v77, -v41
	v_mul_f16_sdwa v41, v6, v78 dst_sel:DWORD dst_unused:UNUSED_PAD src0_sel:WORD_1 src1_sel:DWORD
	s_waitcnt lgkmcnt(0)
	v_lshrrev_b32_e32 v79, 16, v54
	v_fma_f16 v41, v6, v42, v41
	v_mul_f16_sdwa v42, v6, v42 dst_sel:DWORD dst_unused:UNUSED_PAD src0_sel:WORD_1 src1_sel:DWORD
	v_fma_f16 v6, v6, v78, -v42
	v_mul_f16_sdwa v42, v7, v79 dst_sel:DWORD dst_unused:UNUSED_PAD src0_sel:WORD_1 src1_sel:DWORD
	v_lshrrev_b32_e32 v80, 16, v55
	v_fma_f16 v42, v7, v54, v42
	v_mul_f16_sdwa v54, v7, v54 dst_sel:DWORD dst_unused:UNUSED_PAD src0_sel:WORD_1 src1_sel:DWORD
	v_fma_f16 v7, v7, v79, -v54
	v_mul_f16_sdwa v54, v58, v80 dst_sel:DWORD dst_unused:UNUSED_PAD src0_sel:WORD_1 src1_sel:DWORD
	v_fma_f16 v54, v58, v55, v54
	v_mul_f16_sdwa v55, v58, v55 dst_sel:DWORD dst_unused:UNUSED_PAD src0_sel:WORD_1 src1_sel:DWORD
	v_fma_f16 v55, v58, v80, -v55
	v_add_f16_e32 v58, v38, v40
	v_fma_f16 v58, v58, -0.5, v35
	v_sub_f16_e32 v71, v1, v7
	s_mov_b32 s2, 0xbb9c
	s_movk_i32 s5, 0x3b9c
	v_fma_f16 v72, v71, s2, v58
	v_sub_f16_e32 v75, v3, v5
	s_mov_b32 s3, 0xb8b4
	v_sub_f16_e32 v76, v36, v38
	v_sub_f16_e32 v77, v42, v40
	v_fma_f16 v58, v71, s5, v58
	s_movk_i32 s12, 0x38b4
	v_fma_f16 v72, v75, s3, v72
	v_add_f16_e32 v76, v76, v77
	s_movk_i32 s4, 0x34f2
	v_fma_f16 v58, v75, s12, v58
	v_fma_f16 v72, v76, s4, v72
	;; [unrolled: 1-line block ×3, first 2 shown]
	v_add_f16_e32 v76, v36, v42
	v_lshrrev_b32_e32 v56, 16, v35
	v_add_f16_e32 v57, v35, v36
	v_fma_f16 v35, v76, -0.5, v35
	v_add_f16_e32 v57, v57, v38
	v_fma_f16 v76, v75, s5, v35
	v_fma_f16 v35, v75, s2, v35
	v_add_f16_e32 v75, v3, v5
	v_add_f16_e32 v57, v57, v40
	v_sub_f16_e32 v77, v38, v36
	v_sub_f16_e32 v78, v40, v42
	v_fma_f16 v75, v75, -0.5, v56
	v_sub_f16_e32 v36, v36, v42
	v_add_f16_e32 v57, v57, v42
	v_fma_f16 v76, v71, s3, v76
	v_add_f16_e32 v77, v77, v78
	v_fma_f16 v35, v71, s12, v35
	v_fma_f16 v42, v36, s5, v75
	v_sub_f16_e32 v38, v38, v40
	v_fma_f16 v76, v77, s4, v76
	v_fma_f16 v35, v77, s4, v35
	;; [unrolled: 1-line block ×3, first 2 shown]
	v_sub_f16_e32 v42, v1, v3
	v_sub_f16_e32 v77, v7, v5
	v_fma_f16 v75, v36, s2, v75
	v_add_f16_e32 v71, v56, v1
	v_add_f16_e32 v42, v42, v77
	v_fma_f16 v75, v38, s3, v75
	v_add_f16_e32 v71, v71, v3
	v_fma_f16 v40, v42, s4, v40
	v_fma_f16 v42, v42, s4, v75
	v_add_f16_e32 v75, v1, v7
	v_add_f16_e32 v71, v71, v5
	v_fma_f16 v56, v75, -0.5, v56
	v_add_f16_e32 v71, v71, v7
	v_fma_f16 v75, v38, s2, v56
	v_sub_f16_e32 v1, v3, v1
	v_sub_f16_e32 v3, v5, v7
	v_fma_f16 v5, v38, s5, v56
	v_add_f16_e32 v7, v39, v41
	v_fma_f16 v75, v36, s12, v75
	v_add_f16_e32 v1, v1, v3
	v_fma_f16 v5, v36, s3, v5
	v_fma_f16 v7, v7, -0.5, v81
	v_sub_f16_e32 v36, v2, v55
	v_fma_f16 v3, v1, s4, v75
	v_fma_f16 v38, v36, s2, v7
	v_sub_f16_e32 v56, v4, v6
	v_sub_f16_e32 v75, v37, v39
	v_sub_f16_e32 v77, v54, v41
	v_fma_f16 v7, v36, s5, v7
	v_fma_f16 v38, v56, s3, v38
	v_add_f16_e32 v75, v75, v77
	v_fma_f16 v7, v56, s12, v7
	v_fma_f16 v38, v75, s4, v38
	;; [unrolled: 1-line block ×3, first 2 shown]
	v_add_f16_e32 v75, v37, v54
	v_fma_f16 v1, v1, s4, v5
	v_add_f16_e32 v5, v81, v37
	v_fma_f16 v75, v75, -0.5, v81
	v_add_f16_e32 v5, v5, v39
	v_fma_f16 v77, v56, s5, v75
	v_fma_f16 v56, v56, s2, v75
	v_add_f16_e32 v75, v4, v6
	v_add_f16_e32 v5, v5, v41
	v_sub_f16_e32 v78, v39, v37
	v_sub_f16_e32 v79, v41, v54
	v_fma_f16 v75, v75, -0.5, v0
	v_sub_f16_e32 v37, v37, v54
	v_add_f16_e32 v5, v5, v54
	v_fma_f16 v77, v36, s3, v77
	v_add_f16_e32 v78, v78, v79
	v_fma_f16 v36, v36, s12, v56
	v_fma_f16 v54, v37, s5, v75
	v_sub_f16_e32 v39, v39, v41
	v_fma_f16 v77, v78, s4, v77
	v_fma_f16 v36, v78, s4, v36
	;; [unrolled: 1-line block ×3, first 2 shown]
	v_sub_f16_e32 v54, v2, v4
	v_sub_f16_e32 v78, v55, v6
	v_fma_f16 v75, v37, s2, v75
	v_add_f16_e32 v54, v54, v78
	v_fma_f16 v75, v39, s3, v75
	v_fma_f16 v41, v54, s4, v41
	;; [unrolled: 1-line block ×3, first 2 shown]
	v_add_f16_e32 v75, v2, v55
	v_add_f16_e32 v56, v0, v2
	v_fma_f16 v0, v75, -0.5, v0
	v_add_f16_e32 v56, v56, v4
	v_fma_f16 v75, v39, s2, v0
	v_sub_f16_e32 v2, v4, v2
	v_sub_f16_e32 v4, v6, v55
	v_fma_f16 v0, v39, s5, v0
	v_fma_f16 v75, v37, s12, v75
	v_add_f16_e32 v2, v2, v4
	v_fma_f16 v0, v37, s3, v0
	v_add_f16_e32 v56, v56, v6
	v_fma_f16 v4, v2, s4, v75
	v_fma_f16 v0, v2, s4, v0
	v_mul_f16_e32 v6, 0xb8b4, v41
	s_movk_i32 s2, 0x3a79
	v_mul_f16_e32 v41, 0x3a79, v41
	v_add_f16_e32 v56, v56, v55
	v_fma_f16 v6, v38, s2, v6
	v_mul_f16_e32 v39, 0xbb9c, v4
	v_mul_f16_e32 v75, 0xbb9c, v0
	s_mov_b32 s2, 0xb4f2
	v_fma_f16 v38, v38, s12, v41
	v_mul_f16_e32 v4, 0x34f2, v4
	v_mul_f16_e32 v0, 0xb4f2, v0
	v_add_f16_e32 v2, v57, v5
	v_add_f16_e32 v37, v72, v6
	v_fma_f16 v39, v77, s4, v39
	v_fma_f16 v75, v36, s2, v75
	v_mul_f16_e32 v79, 0xb8b4, v54
	s_mov_b32 s2, 0xba79
	v_add_f16_e32 v81, v71, v56
	v_add_f16_e32 v41, v40, v38
	v_fma_f16 v4, v77, s5, v4
	v_fma_f16 v0, v36, s5, v0
	v_mul_f16_e32 v36, 0xba79, v54
	v_add_f16_e32 v55, v76, v39
	v_add_f16_e32 v78, v35, v75
	v_fma_f16 v79, v7, s2, v79
	v_add_f16_e32 v77, v3, v4
	v_add_f16_e32 v82, v1, v0
	v_fma_f16 v7, v7, s12, v36
	v_sub_f16_e32 v0, v1, v0
	v_pack_b32_f16 v1, v2, v81
	v_pack_b32_f16 v2, v37, v41
	v_add_f16_e32 v80, v58, v79
	v_add_f16_e32 v54, v42, v7
	v_sub_f16_e32 v5, v57, v5
	v_sub_f16_e32 v56, v71, v56
	s_barrier
	ds_write2_b32 v59, v1, v2 offset1:3
	v_pack_b32_f16 v1, v55, v77
	v_pack_b32_f16 v2, v78, v82
	v_sub_f16_e32 v6, v72, v6
	v_sub_f16_e32 v39, v76, v39
	;; [unrolled: 1-line block ×4, first 2 shown]
	ds_write2_b32 v59, v1, v2 offset0:6 offset1:9
	v_pack_b32_f16 v1, v80, v54
	v_pack_b32_f16 v2, v5, v56
	v_sub_f16_e32 v57, v35, v75
	v_sub_f16_e32 v35, v58, v79
	;; [unrolled: 1-line block ×3, first 2 shown]
	ds_write2_b32 v59, v1, v2 offset0:12 offset1:15
	v_pack_b32_f16 v1, v6, v38
	v_pack_b32_f16 v2, v39, v3
	ds_write2_b32 v59, v1, v2 offset0:18 offset1:21
	v_pack_b32_f16 v0, v57, v0
	v_pack_b32_f16 v1, v35, v36
	ds_write2_b32 v59, v0, v1 offset0:24 offset1:27
	v_add_u32_e32 v0, 0x200, v43
	s_waitcnt lgkmcnt(0)
	s_barrier
	ds_read2_b32 v[2:3], v43 offset1:81
	ds_read2_b32 v[0:1], v0 offset0:34 offset1:142
	ds_read2_b32 v[6:7], v74 offset0:28 offset1:109
	;; [unrolled: 1-line block ×3, first 2 shown]
	ds_read_b32 v37, v43 offset:2808
	s_and_saveexec_b64 s[2:3], s[0:1]
	s_cbranch_execz .LBB0_27
; %bb.26:
	ds_read_b32 v35, v43 offset:972
	ds_read_b32 v64, v43 offset:2052
	;; [unrolled: 1-line block ×3, first 2 shown]
	s_waitcnt lgkmcnt(2)
	v_lshrrev_b32_e32 v36, 16, v35
	s_waitcnt lgkmcnt(1)
	v_lshrrev_b32_e32 v67, 16, v64
	;; [unrolled: 2-line block ×3, first 2 shown]
.LBB0_27:
	s_or_b64 exec, exec, s[2:3]
	s_waitcnt lgkmcnt(3)
	v_lshrrev_b32_e32 v39, 16, v1
	v_mul_f16_sdwa v58, v11, v39 dst_sel:DWORD dst_unused:UNUSED_PAD src0_sel:WORD_1 src1_sel:DWORD
	s_waitcnt lgkmcnt(2)
	v_lshrrev_b32_e32 v40, 16, v6
	v_fma_f16 v58, v11, v1, v58
	v_mul_f16_sdwa v1, v11, v1 dst_sel:DWORD dst_unused:UNUSED_PAD src0_sel:WORD_1 src1_sel:DWORD
	v_fma_f16 v1, v11, v39, -v1
	v_mul_f16_sdwa v11, v12, v40 dst_sel:DWORD dst_unused:UNUSED_PAD src0_sel:WORD_1 src1_sel:DWORD
	s_waitcnt lgkmcnt(1)
	v_lshrrev_b32_e32 v42, 16, v4
	v_fma_f16 v11, v12, v6, v11
	v_mul_f16_sdwa v6, v12, v6 dst_sel:DWORD dst_unused:UNUSED_PAD src0_sel:WORD_1 src1_sel:DWORD
	v_fma_f16 v6, v12, v40, -v6
	v_mul_f16_sdwa v12, v13, v42 dst_sel:DWORD dst_unused:UNUSED_PAD src0_sel:WORD_1 src1_sel:DWORD
	v_lshrrev_b32_e32 v54, 16, v7
	v_fma_f16 v12, v13, v4, v12
	v_mul_f16_sdwa v4, v13, v4 dst_sel:DWORD dst_unused:UNUSED_PAD src0_sel:WORD_1 src1_sel:DWORD
	v_fma_f16 v4, v13, v42, -v4
	v_mul_f16_sdwa v13, v14, v54 dst_sel:DWORD dst_unused:UNUSED_PAD src0_sel:WORD_1 src1_sel:DWORD
	v_lshrrev_b32_e32 v56, 16, v5
	v_fma_f16 v13, v14, v7, v13
	v_mul_f16_sdwa v7, v14, v7 dst_sel:DWORD dst_unused:UNUSED_PAD src0_sel:WORD_1 src1_sel:DWORD
	v_fma_f16 v7, v14, v54, -v7
	v_mul_f16_sdwa v14, v15, v56 dst_sel:DWORD dst_unused:UNUSED_PAD src0_sel:WORD_1 src1_sel:DWORD
	s_waitcnt lgkmcnt(0)
	v_lshrrev_b32_e32 v57, 16, v37
	v_fma_f16 v14, v15, v5, v14
	v_mul_f16_sdwa v5, v15, v5 dst_sel:DWORD dst_unused:UNUSED_PAD src0_sel:WORD_1 src1_sel:DWORD
	v_fma_f16 v5, v15, v56, -v5
	v_mul_f16_sdwa v15, v16, v57 dst_sel:DWORD dst_unused:UNUSED_PAD src0_sel:WORD_1 src1_sel:DWORD
	v_fma_f16 v15, v16, v37, v15
	v_mul_f16_sdwa v37, v16, v37 dst_sel:DWORD dst_unused:UNUSED_PAD src0_sel:WORD_1 src1_sel:DWORD
	v_fma_f16 v16, v16, v57, -v37
	v_mul_f16_sdwa v37, v17, v67 dst_sel:DWORD dst_unused:UNUSED_PAD src0_sel:WORD_1 src1_sel:DWORD
	v_mul_f16_sdwa v39, v17, v64 dst_sel:DWORD dst_unused:UNUSED_PAD src0_sel:WORD_1 src1_sel:DWORD
	v_fma_f16 v37, v17, v64, v37
	v_fma_f16 v17, v17, v67, -v39
	v_mul_f16_sdwa v39, v18, v66 dst_sel:DWORD dst_unused:UNUSED_PAD src0_sel:WORD_1 src1_sel:DWORD
	v_mul_f16_sdwa v40, v18, v65 dst_sel:DWORD dst_unused:UNUSED_PAD src0_sel:WORD_1 src1_sel:DWORD
	v_add_f16_e32 v42, v58, v11
	v_lshrrev_b32_e32 v38, 16, v2
	v_fma_f16 v39, v18, v65, v39
	v_fma_f16 v18, v18, v66, -v40
	v_add_f16_e32 v40, v2, v58
	v_fma_f16 v2, v42, -0.5, v2
	v_sub_f16_e32 v42, v1, v6
	s_mov_b32 s2, 0xbaee
	s_movk_i32 s3, 0x3aee
	v_fma_f16 v54, v42, s2, v2
	v_fma_f16 v2, v42, s3, v2
	v_add_f16_e32 v42, v38, v1
	v_add_f16_e32 v1, v1, v6
	;; [unrolled: 1-line block ×4, first 2 shown]
	v_fma_f16 v1, v1, -0.5, v38
	v_sub_f16_e32 v6, v58, v11
	v_add_f16_e32 v11, v12, v13
	v_lshrrev_b32_e32 v41, 16, v3
	v_fma_f16 v38, v6, s3, v1
	v_fma_f16 v1, v6, s2, v1
	v_add_f16_e32 v6, v3, v12
	v_fma_f16 v3, v11, -0.5, v3
	v_sub_f16_e32 v11, v4, v7
	v_fma_f16 v56, v11, s2, v3
	v_fma_f16 v3, v11, s3, v3
	v_add_f16_e32 v11, v41, v4
	v_add_f16_e32 v4, v4, v7
	;; [unrolled: 1-line block ×3, first 2 shown]
	v_fma_f16 v4, v4, -0.5, v41
	v_sub_f16_e32 v7, v12, v13
	v_add_f16_e32 v11, v14, v15
	v_lshrrev_b32_e32 v55, 16, v0
	v_fma_f16 v41, v7, s3, v4
	v_fma_f16 v4, v7, s2, v4
	v_add_f16_e32 v7, v0, v14
	v_fma_f16 v0, v11, -0.5, v0
	v_sub_f16_e32 v11, v5, v16
	v_fma_f16 v58, v11, s2, v0
	v_fma_f16 v0, v11, s3, v0
	v_add_f16_e32 v11, v55, v5
	v_add_f16_e32 v5, v5, v16
	;; [unrolled: 1-line block ×3, first 2 shown]
	v_fma_f16 v5, v5, -0.5, v55
	v_sub_f16_e32 v11, v14, v15
	v_fma_f16 v55, v11, s3, v5
	v_fma_f16 v5, v11, s2, v5
	v_add_f16_e32 v11, v35, v37
	v_add_f16_e32 v12, v11, v39
	;; [unrolled: 1-line block ×4, first 2 shown]
	v_fma_f16 v13, v11, -0.5, v35
	v_sub_f16_e32 v14, v17, v18
	v_fma_f16 v11, v14, s2, v13
	v_fma_f16 v13, v14, s3, v13
	v_add_f16_e32 v14, v36, v17
	v_add_f16_e32 v7, v7, v15
	;; [unrolled: 1-line block ×4, first 2 shown]
	v_fma_f16 v14, v14, -0.5, v36
	v_sub_f16_e32 v17, v37, v39
	v_pack_b32_f16 v1, v2, v1
	v_fma_f16 v16, v17, s3, v14
	v_fma_f16 v14, v17, s2, v14
	s_barrier
	v_pack_b32_f16 v17, v40, v42
	v_pack_b32_f16 v18, v54, v38
	ds_write_b32 v61, v1 offset:240
	v_pack_b32_f16 v1, v6, v57
	v_pack_b32_f16 v2, v56, v41
	ds_write2_b32 v61, v17, v18 offset1:30
	ds_write2_b32 v62, v1, v2 offset1:30
	v_pack_b32_f16 v1, v3, v4
	ds_write_b32 v62, v1 offset:240
	v_pack_b32_f16 v1, v7, v59
	v_pack_b32_f16 v2, v58, v55
	;; [unrolled: 1-line block ×3, first 2 shown]
	ds_write2_b32 v63, v1, v2 offset1:30
	ds_write_b32 v63, v0 offset:240
	s_and_saveexec_b64 s[2:3], s[0:1]
	s_cbranch_execz .LBB0_29
; %bb.28:
	s_mov_b32 s4, 0x5040100
	v_perm_b32 v0, v15, v12, s4
	v_perm_b32 v1, v16, v11, s4
	v_add_u32_e32 v2, 0x800, v60
	ds_write2_b32 v2, v0, v1 offset0:208 offset1:238
	v_perm_b32 v0, v14, v13, s4
	ds_write_b32 v60, v0 offset:3120
.LBB0_29:
	s_or_b64 exec, exec, s[2:3]
	v_add_u32_e32 v4, 0x800, v43
	s_waitcnt lgkmcnt(0)
	s_barrier
	v_add_u32_e32 v0, 0x200, v43
	ds_read2_b32 v[6:7], v4 offset0:28 offset1:109
	v_add_u32_e32 v4, 0x400, v43
	ds_read2_b32 v[2:3], v43 offset1:81
	ds_read2_b32 v[0:1], v0 offset0:34 offset1:142
	ds_read2_b32 v[4:5], v4 offset0:95 offset1:176
	ds_read_b32 v17, v43 offset:2808
	s_and_saveexec_b64 s[2:3], s[0:1]
	s_cbranch_execz .LBB0_31
; %bb.30:
	ds_read_b32 v12, v43 offset:972
	ds_read_b32 v11, v43 offset:2052
	ds_read_b32 v13, v43 offset:3132
	s_waitcnt lgkmcnt(2)
	v_lshrrev_b32_e32 v15, 16, v12
	s_waitcnt lgkmcnt(1)
	v_lshrrev_b32_e32 v16, 16, v11
	;; [unrolled: 2-line block ×3, first 2 shown]
.LBB0_31:
	s_or_b64 exec, exec, s[2:3]
	s_waitcnt lgkmcnt(2)
	v_lshrrev_b32_e32 v35, 16, v1
	v_mul_f16_sdwa v54, v19, v35 dst_sel:DWORD dst_unused:UNUSED_PAD src0_sel:WORD_1 src1_sel:DWORD
	v_lshrrev_b32_e32 v36, 16, v6
	v_fma_f16 v54, v19, v1, v54
	v_mul_f16_sdwa v1, v19, v1 dst_sel:DWORD dst_unused:UNUSED_PAD src0_sel:WORD_1 src1_sel:DWORD
	v_fma_f16 v1, v19, v35, -v1
	v_mul_f16_sdwa v19, v20, v36 dst_sel:DWORD dst_unused:UNUSED_PAD src0_sel:WORD_1 src1_sel:DWORD
	s_waitcnt lgkmcnt(1)
	v_lshrrev_b32_e32 v38, 16, v4
	v_fma_f16 v19, v20, v6, v19
	v_mul_f16_sdwa v6, v20, v6 dst_sel:DWORD dst_unused:UNUSED_PAD src0_sel:WORD_1 src1_sel:DWORD
	v_fma_f16 v6, v20, v36, -v6
	v_mul_f16_sdwa v20, v23, v38 dst_sel:DWORD dst_unused:UNUSED_PAD src0_sel:WORD_1 src1_sel:DWORD
	v_lshrrev_b32_e32 v39, 16, v7
	v_fma_f16 v20, v23, v4, v20
	v_mul_f16_sdwa v4, v23, v4 dst_sel:DWORD dst_unused:UNUSED_PAD src0_sel:WORD_1 src1_sel:DWORD
	v_fma_f16 v4, v23, v38, -v4
	v_mul_f16_sdwa v23, v24, v39 dst_sel:DWORD dst_unused:UNUSED_PAD src0_sel:WORD_1 src1_sel:DWORD
	;; [unrolled: 5-line block ×3, first 2 shown]
	s_waitcnt lgkmcnt(0)
	v_lshrrev_b32_e32 v42, 16, v17
	v_fma_f16 v24, v21, v5, v24
	v_mul_f16_sdwa v5, v21, v5 dst_sel:DWORD dst_unused:UNUSED_PAD src0_sel:WORD_1 src1_sel:DWORD
	v_fma_f16 v5, v21, v41, -v5
	v_mul_f16_sdwa v21, v22, v42 dst_sel:DWORD dst_unused:UNUSED_PAD src0_sel:WORD_1 src1_sel:DWORD
	v_fma_f16 v21, v22, v17, v21
	v_mul_f16_sdwa v17, v22, v17 dst_sel:DWORD dst_unused:UNUSED_PAD src0_sel:WORD_1 src1_sel:DWORD
	v_fma_f16 v17, v22, v42, -v17
	v_mul_f16_sdwa v22, v25, v16 dst_sel:DWORD dst_unused:UNUSED_PAD src0_sel:WORD_1 src1_sel:DWORD
	;; [unrolled: 4-line block ×3, first 2 shown]
	v_fma_f16 v25, v26, v13, v11
	v_mul_f16_sdwa v11, v26, v13 dst_sel:DWORD dst_unused:UNUSED_PAD src0_sel:WORD_1 src1_sel:DWORD
	v_fma_f16 v26, v26, v14, -v11
	v_add_f16_e32 v11, v2, v54
	v_add_f16_e32 v35, v11, v19
	;; [unrolled: 1-line block ×3, first 2 shown]
	v_lshrrev_b32_e32 v18, 16, v2
	v_fma_f16 v2, v11, -0.5, v2
	v_sub_f16_e32 v11, v1, v6
	s_mov_b32 s2, 0xbaee
	s_movk_i32 s3, 0x3aee
	v_fma_f16 v36, v11, s2, v2
	v_fma_f16 v2, v11, s3, v2
	v_add_f16_e32 v11, v18, v1
	v_add_f16_e32 v1, v1, v6
	;; [unrolled: 1-line block ×3, first 2 shown]
	v_fma_f16 v1, v1, -0.5, v18
	v_sub_f16_e32 v6, v54, v19
	v_add_f16_e32 v11, v20, v23
	v_lshrrev_b32_e32 v37, 16, v3
	v_fma_f16 v18, v6, s3, v1
	v_fma_f16 v1, v6, s2, v1
	v_add_f16_e32 v6, v3, v20
	v_fma_f16 v3, v11, -0.5, v3
	v_sub_f16_e32 v11, v4, v7
	v_fma_f16 v19, v11, s2, v3
	v_fma_f16 v3, v11, s3, v3
	v_add_f16_e32 v11, v37, v4
	v_add_f16_e32 v4, v4, v7
	;; [unrolled: 1-line block ×3, first 2 shown]
	v_fma_f16 v4, v4, -0.5, v37
	v_sub_f16_e32 v7, v20, v23
	v_add_f16_e32 v11, v24, v21
	v_lshrrev_b32_e32 v40, 16, v0
	v_fma_f16 v20, v7, s3, v4
	v_fma_f16 v4, v7, s2, v4
	v_add_f16_e32 v7, v0, v24
	v_fma_f16 v0, v11, -0.5, v0
	v_sub_f16_e32 v11, v5, v17
	v_add_f16_e32 v6, v6, v23
	v_fma_f16 v23, v11, s2, v0
	v_fma_f16 v0, v11, s3, v0
	v_add_f16_e32 v11, v40, v5
	v_add_f16_e32 v5, v5, v17
	;; [unrolled: 1-line block ×4, first 2 shown]
	v_fma_f16 v5, v5, -0.5, v40
	v_sub_f16_e32 v11, v24, v21
	v_fma_f16 v13, v13, -0.5, v12
	v_sub_f16_e32 v14, v16, v26
	v_fma_f16 v17, v11, s3, v5
	v_fma_f16 v5, v11, s2, v5
	v_add_f16_e32 v11, v12, v22
	v_fma_f16 v12, v14, s2, v13
	v_fma_f16 v14, v14, s3, v13
	v_add_f16_e32 v13, v15, v16
	v_add_f16_e32 v16, v16, v26
	;; [unrolled: 1-line block ×3, first 2 shown]
	v_fma_f16 v16, v16, -0.5, v15
	v_sub_f16_e32 v21, v22, v25
	v_pack_b32_f16 v1, v2, v1
	v_fma_f16 v15, v21, s3, v16
	v_fma_f16 v16, v21, s2, v16
	s_barrier
	v_pack_b32_f16 v21, v35, v38
	v_pack_b32_f16 v18, v36, v18
	ds_write_b32 v43, v1 offset:720
	v_pack_b32_f16 v1, v6, v39
	v_pack_b32_f16 v2, v19, v20
	ds_write2_b32 v43, v21, v18 offset1:90
	ds_write2_b32 v69, v1, v2 offset1:90
	v_pack_b32_f16 v1, v3, v4
	v_add_f16_e32 v11, v11, v25
	v_add_f16_e32 v13, v13, v26
	ds_write_b32 v69, v1 offset:720
	v_pack_b32_f16 v1, v7, v37
	v_pack_b32_f16 v2, v23, v17
	;; [unrolled: 1-line block ×3, first 2 shown]
	ds_write2_b32 v70, v1, v2 offset1:90
	ds_write_b32 v70, v0 offset:720
	s_and_saveexec_b64 s[2:3], s[0:1]
	s_cbranch_execz .LBB0_33
; %bb.32:
	s_mov_b32 s4, 0x5040100
	v_perm_b32 v0, v13, v11, s4
	v_perm_b32 v1, v15, v12, s4
	v_add_u32_e32 v2, 0x800, v68
	ds_write2_b32 v2, v0, v1 offset0:28 offset1:118
	v_perm_b32 v0, v16, v14, s4
	ds_write_b32 v68, v0 offset:2880
.LBB0_33:
	s_or_b64 exec, exec, s[2:3]
	v_add_u32_e32 v0, 0x200, v43
	v_add_u32_e32 v17, 0x800, v43
	;; [unrolled: 1-line block ×3, first 2 shown]
	s_waitcnt lgkmcnt(0)
	s_barrier
	ds_read2_b32 v[2:3], v43 offset1:81
	ds_read2_b32 v[0:1], v0 offset0:34 offset1:142
	ds_read2_b32 v[6:7], v17 offset0:28 offset1:109
	;; [unrolled: 1-line block ×3, first 2 shown]
	ds_read_b32 v19, v43 offset:2808
	s_and_saveexec_b64 s[2:3], s[0:1]
	s_cbranch_execz .LBB0_35
; %bb.34:
	ds_read_b32 v11, v43 offset:972
	ds_read_b32 v12, v43 offset:2052
	;; [unrolled: 1-line block ×3, first 2 shown]
	s_waitcnt lgkmcnt(2)
	v_lshrrev_b32_e32 v13, 16, v11
	s_waitcnt lgkmcnt(1)
	v_lshrrev_b32_e32 v15, 16, v12
	;; [unrolled: 2-line block ×3, first 2 shown]
.LBB0_35:
	s_or_b64 exec, exec, s[2:3]
	s_waitcnt lgkmcnt(3)
	v_lshrrev_b32_e32 v21, 16, v1
	v_mul_f16_sdwa v37, v29, v21 dst_sel:DWORD dst_unused:UNUSED_PAD src0_sel:WORD_1 src1_sel:DWORD
	s_waitcnt lgkmcnt(2)
	v_lshrrev_b32_e32 v22, 16, v6
	v_fma_f16 v37, v29, v1, v37
	v_mul_f16_sdwa v1, v29, v1 dst_sel:DWORD dst_unused:UNUSED_PAD src0_sel:WORD_1 src1_sel:DWORD
	v_fma_f16 v1, v29, v21, -v1
	v_mul_f16_sdwa v21, v30, v22 dst_sel:DWORD dst_unused:UNUSED_PAD src0_sel:WORD_1 src1_sel:DWORD
	s_waitcnt lgkmcnt(1)
	v_lshrrev_b32_e32 v24, 16, v4
	v_fma_f16 v21, v30, v6, v21
	v_mul_f16_sdwa v6, v30, v6 dst_sel:DWORD dst_unused:UNUSED_PAD src0_sel:WORD_1 src1_sel:DWORD
	v_fma_f16 v6, v30, v22, -v6
	v_mul_f16_sdwa v22, v31, v24 dst_sel:DWORD dst_unused:UNUSED_PAD src0_sel:WORD_1 src1_sel:DWORD
	v_lshrrev_b32_e32 v25, 16, v7
	v_fma_f16 v22, v31, v4, v22
	v_mul_f16_sdwa v4, v31, v4 dst_sel:DWORD dst_unused:UNUSED_PAD src0_sel:WORD_1 src1_sel:DWORD
	v_fma_f16 v4, v31, v24, -v4
	v_mul_f16_sdwa v24, v32, v25 dst_sel:DWORD dst_unused:UNUSED_PAD src0_sel:WORD_1 src1_sel:DWORD
	v_add_f16_e32 v31, v37, v21
	v_lshrrev_b32_e32 v20, 16, v2
	v_fma_f16 v24, v32, v7, v24
	v_mul_f16_sdwa v7, v32, v7 dst_sel:DWORD dst_unused:UNUSED_PAD src0_sel:WORD_1 src1_sel:DWORD
	v_add_f16_e32 v30, v2, v37
	v_fma_f16 v2, v31, -0.5, v2
	v_sub_f16_e32 v31, v1, v6
	s_mov_b32 s4, 0xbaee
	s_movk_i32 s5, 0x3aee
	v_lshrrev_b32_e32 v35, 16, v5
	v_fma_f16 v7, v32, v25, -v7
	v_fma_f16 v32, v31, s4, v2
	v_fma_f16 v2, v31, s5, v2
	v_add_f16_e32 v31, v20, v1
	v_add_f16_e32 v1, v1, v6
	s_waitcnt lgkmcnt(0)
	v_lshrrev_b32_e32 v36, 16, v19
	v_mul_f16_sdwa v25, v33, v35 dst_sel:DWORD dst_unused:UNUSED_PAD src0_sel:WORD_1 src1_sel:DWORD
	v_add_f16_e32 v30, v30, v21
	v_add_f16_e32 v31, v31, v6
	v_fma_f16 v1, v1, -0.5, v20
	v_sub_f16_e32 v6, v37, v21
	v_add_f16_e32 v21, v22, v24
	v_lshrrev_b32_e32 v23, 16, v3
	v_fma_f16 v25, v33, v5, v25
	v_mul_f16_sdwa v5, v33, v5 dst_sel:DWORD dst_unused:UNUSED_PAD src0_sel:WORD_1 src1_sel:DWORD
	v_mul_f16_sdwa v29, v34, v36 dst_sel:DWORD dst_unused:UNUSED_PAD src0_sel:WORD_1 src1_sel:DWORD
	v_fma_f16 v20, v6, s5, v1
	v_fma_f16 v1, v6, s4, v1
	v_add_f16_e32 v6, v3, v22
	v_fma_f16 v3, v21, -0.5, v3
	v_sub_f16_e32 v21, v4, v7
	v_fma_f16 v5, v33, v35, -v5
	v_fma_f16 v29, v34, v19, v29
	v_mul_f16_sdwa v19, v34, v19 dst_sel:DWORD dst_unused:UNUSED_PAD src0_sel:WORD_1 src1_sel:DWORD
	v_fma_f16 v33, v21, s4, v3
	v_fma_f16 v3, v21, s5, v3
	v_add_f16_e32 v21, v23, v4
	v_add_f16_e32 v4, v4, v7
	v_fma_f16 v19, v34, v36, -v19
	v_add_f16_e32 v21, v21, v7
	v_fma_f16 v4, v4, -0.5, v23
	v_sub_f16_e32 v7, v22, v24
	v_add_f16_e32 v23, v25, v29
	v_lshrrev_b32_e32 v26, 16, v0
	v_fma_f16 v22, v7, s5, v4
	v_fma_f16 v4, v7, s4, v4
	v_add_f16_e32 v7, v0, v25
	v_fma_f16 v0, v23, -0.5, v0
	v_sub_f16_e32 v23, v5, v19
	v_add_f16_e32 v6, v6, v24
	v_fma_f16 v24, v23, s4, v0
	v_fma_f16 v0, v23, s5, v0
	v_add_f16_e32 v23, v26, v5
	v_add_f16_e32 v5, v5, v19
	;; [unrolled: 1-line block ×4, first 2 shown]
	v_fma_f16 v5, v5, -0.5, v26
	v_sub_f16_e32 v19, v25, v29
	v_pack_b32_f16 v1, v2, v1
	v_fma_f16 v25, v19, s5, v5
	v_fma_f16 v5, v19, s4, v5
	v_pack_b32_f16 v19, v30, v31
	v_pack_b32_f16 v20, v32, v20
	ds_write_b32 v43, v1 offset:2160
	v_pack_b32_f16 v1, v6, v21
	v_pack_b32_f16 v2, v3, v4
	;; [unrolled: 1-line block ×3, first 2 shown]
	ds_write_b32 v43, v20 offset:1080
	ds_write2_b32 v43, v19, v1 offset1:81
	v_pack_b32_f16 v1, v33, v22
	ds_write_b32 v43, v3 offset:648
	v_pack_b32_f16 v3, v24, v25
	v_pack_b32_f16 v0, v0, v5
	ds_write2_b32 v18, v1, v3 offset0:95 offset1:176
	ds_write2_b32 v17, v2, v0 offset0:109 offset1:190
	s_and_saveexec_b64 s[2:3], s[0:1]
	s_cbranch_execz .LBB0_37
; %bb.36:
	v_mul_f16_sdwa v0, v27, v12 dst_sel:DWORD dst_unused:UNUSED_PAD src0_sel:WORD_1 src1_sel:DWORD
	v_mul_f16_sdwa v1, v28, v14 dst_sel:DWORD dst_unused:UNUSED_PAD src0_sel:WORD_1 src1_sel:DWORD
	v_fma_f16 v0, v27, v15, -v0
	v_fma_f16 v1, v28, v16, -v1
	v_mul_f16_sdwa v3, v27, v15 dst_sel:DWORD dst_unused:UNUSED_PAD src0_sel:WORD_1 src1_sel:DWORD
	v_mul_f16_sdwa v4, v28, v16 dst_sel:DWORD dst_unused:UNUSED_PAD src0_sel:WORD_1 src1_sel:DWORD
	v_add_f16_e32 v2, v0, v1
	v_fma_f16 v3, v27, v12, v3
	v_fma_f16 v4, v28, v14, v4
	v_fma_f16 v2, v2, -0.5, v13
	v_sub_f16_e32 v5, v3, v4
	v_add_f16_e32 v7, v3, v4
	v_fma_f16 v6, v5, s4, v2
	v_fma_f16 v2, v5, s5, v2
	v_add_f16_e32 v5, v13, v0
	v_fma_f16 v7, v7, -0.5, v11
	v_sub_f16_e32 v0, v0, v1
	v_add_f16_e32 v5, v5, v1
	v_fma_f16 v1, v0, s5, v7
	v_fma_f16 v0, v0, s4, v7
	v_add_f16_e32 v3, v11, v3
	v_add_f16_e32 v3, v3, v4
	v_pack_b32_f16 v0, v0, v2
	v_pack_b32_f16 v3, v3, v5
	ds_write_b32 v43, v0 offset:2052
	v_pack_b32_f16 v0, v1, v6
	ds_write_b32 v43, v3 offset:972
	ds_write_b32 v43, v0 offset:3132
.LBB0_37:
	s_or_b64 exec, exec, s[2:3]
	s_waitcnt lgkmcnt(0)
	s_barrier
	ds_read2_b32 v[2:3], v43 offset1:81
	s_mov_b32 s12, 0x30abee4d
	s_mov_b32 s13, 0x3f543a27
	v_mad_u64_u32 v[4:5], s[2:3], s10, v10, 0
	s_waitcnt lgkmcnt(0)
	v_lshrrev_b32_e32 v7, 16, v2
	v_mul_f16_sdwa v0, v53, v7 dst_sel:DWORD dst_unused:UNUSED_PAD src0_sel:WORD_1 src1_sel:DWORD
	v_fma_f16 v0, v53, v2, v0
	v_cvt_f32_f16_e32 v0, v0
	s_movk_i32 s10, 0x1ff
	v_mad_u64_u32 v[5:6], s[2:3], s11, v10, v[5:6]
	v_cvt_f64_f32_e32 v[0:1], v0
	s_movk_i32 s11, 0xffe
	v_mul_f16_sdwa v2, v53, v2 dst_sel:DWORD dst_unused:UNUSED_PAD src0_sel:WORD_1 src1_sel:DWORD
	v_fma_f16 v2, v53, v7, -v2
	v_mul_f64 v[0:1], v[0:1], s[12:13]
	v_cvt_f32_f16_e32 v7, v2
	v_mov_b32_e32 v2, 0x7c00
	s_movk_i32 s14, 0x40f
	s_mov_b32 s15, 0x8000
	v_lshlrev_b64 v[4:5], 2, v[4:5]
	v_and_or_b32 v0, v1, s10, v0
	v_cmp_ne_u32_e32 vcc, 0, v0
	v_lshrrev_b32_e32 v6, 8, v1
	v_bfe_u32 v10, v1, 20, 11
	v_cndmask_b32_e64 v0, 0, 1, vcc
	v_sub_u32_e32 v11, 0x3f1, v10
	v_and_or_b32 v0, v6, s11, v0
	v_or_b32_e32 v6, 0x1000, v0
	v_med3_i32 v11, v11, 0, 13
	v_lshrrev_b32_e32 v12, v11, v6
	v_lshlrev_b32_e32 v11, v11, v12
	v_cmp_ne_u32_e32 vcc, v11, v6
	v_cndmask_b32_e64 v6, 0, 1, vcc
	v_add_u32_e32 v10, 0xfffffc10, v10
	v_or_b32_e32 v6, v12, v6
	v_lshl_or_b32 v11, v10, 12, v0
	v_cmp_gt_i32_e32 vcc, 1, v10
	v_cndmask_b32_e32 v6, v11, v6, vcc
	v_and_b32_e32 v11, 7, v6
	v_cmp_lt_i32_e32 vcc, 5, v11
	v_cmp_eq_u32_e64 s[2:3], 3, v11
	v_lshrrev_b32_e32 v6, 2, v6
	s_or_b64 vcc, s[2:3], vcc
	v_addc_co_u32_e32 v11, vcc, 0, v6, vcc
	v_cvt_f64_f32_e32 v[6:7], v7
	v_cmp_gt_i32_e32 vcc, 31, v10
	v_cndmask_b32_e32 v11, v2, v11, vcc
	v_cmp_ne_u32_e32 vcc, 0, v0
	v_mul_f64 v[6:7], v[6:7], s[12:13]
	v_cndmask_b32_e64 v0, 0, 1, vcc
	v_lshl_or_b32 v0, v0, 9, v2
	v_cmp_eq_u32_e32 vcc, s14, v10
	v_cndmask_b32_e32 v0, v11, v0, vcc
	v_lshrrev_b32_e32 v1, 16, v1
	v_and_or_b32 v12, v1, s15, v0
	v_and_b32_e32 v12, 0xffff, v12
	v_and_or_b32 v0, v7, s10, v6
	v_cmp_ne_u32_e32 vcc, 0, v0
	v_cndmask_b32_e64 v0, 0, 1, vcc
	v_lshrrev_b32_e32 v1, 8, v7
	v_bfe_u32 v6, v7, 20, 11
	v_and_or_b32 v0, v1, s11, v0
	v_sub_u32_e32 v10, 0x3f1, v6
	v_or_b32_e32 v1, 0x1000, v0
	v_med3_i32 v10, v10, 0, 13
	v_lshrrev_b32_e32 v11, v10, v1
	v_lshlrev_b32_e32 v10, v10, v11
	v_cmp_ne_u32_e32 vcc, v10, v1
	v_cndmask_b32_e64 v1, 0, 1, vcc
	v_add_u32_e32 v6, 0xfffffc10, v6
	v_or_b32_e32 v1, v11, v1
	v_lshl_or_b32 v10, v6, 12, v0
	v_cmp_gt_i32_e32 vcc, 1, v6
	v_cndmask_b32_e32 v1, v10, v1, vcc
	v_and_b32_e32 v10, 7, v1
	v_cmp_lt_i32_e32 vcc, 5, v10
	v_cmp_eq_u32_e64 s[2:3], 3, v10
	v_lshrrev_b32_e32 v1, 2, v1
	s_or_b64 vcc, s[2:3], vcc
	v_addc_co_u32_e32 v1, vcc, 0, v1, vcc
	v_cmp_gt_i32_e32 vcc, 31, v6
	v_cndmask_b32_e32 v1, v2, v1, vcc
	v_cmp_ne_u32_e32 vcc, 0, v0
	v_cndmask_b32_e64 v0, 0, 1, vcc
	v_lshl_or_b32 v0, v0, 9, v2
	v_cmp_eq_u32_e32 vcc, s14, v6
	v_cndmask_b32_e32 v13, v1, v0, vcc
	v_add_u32_e32 v0, 0x200, v43
	v_mad_u64_u32 v[10:11], s[2:3], s8, v52, 0
	ds_read2_b32 v[0:1], v0 offset0:34 offset1:142
	v_lshrrev_b32_e32 v14, 16, v7
	v_mov_b32_e32 v6, v11
	v_mad_u64_u32 v[6:7], s[2:3], s9, v52, v[6:7]
	s_waitcnt lgkmcnt(0)
	v_lshrrev_b32_e32 v15, 16, v1
	v_mul_f16_sdwa v7, v51, v15 dst_sel:DWORD dst_unused:UNUSED_PAD src0_sel:WORD_1 src1_sel:DWORD
	v_fma_f16 v7, v51, v1, v7
	v_cvt_f32_f16_e32 v7, v7
	v_mov_b32_e32 v11, v6
	v_and_or_b32 v13, v14, s15, v13
	v_lshl_or_b32 v12, v13, 16, v12
	v_cvt_f64_f32_e32 v[6:7], v7
	v_mov_b32_e32 v13, s7
	v_add_co_u32_e32 v14, vcc, s6, v4
	v_mul_f64 v[6:7], v[6:7], s[12:13]
	v_addc_co_u32_e32 v13, vcc, v13, v5, vcc
	v_lshlrev_b64 v[4:5], 2, v[10:11]
	v_mul_f16_sdwa v1, v51, v1 dst_sel:DWORD dst_unused:UNUSED_PAD src0_sel:WORD_1 src1_sel:DWORD
	v_add_co_u32_e32 v4, vcc, v14, v4
	v_addc_co_u32_e32 v5, vcc, v13, v5, vcc
	v_and_or_b32 v6, v7, s10, v6
	v_cmp_ne_u32_e32 vcc, 0, v6
	v_cndmask_b32_e64 v6, 0, 1, vcc
	v_lshrrev_b32_e32 v10, 8, v7
	v_bfe_u32 v11, v7, 20, 11
	global_store_dword v[4:5], v12, off
	v_and_or_b32 v6, v10, s11, v6
	v_sub_u32_e32 v12, 0x3f1, v11
	v_or_b32_e32 v10, 0x1000, v6
	v_med3_i32 v12, v12, 0, 13
	v_lshrrev_b32_e32 v13, v12, v10
	v_lshlrev_b32_e32 v12, v12, v13
	v_cmp_ne_u32_e32 vcc, v12, v10
	v_fma_f16 v1, v51, v15, -v1
	v_cndmask_b32_e64 v10, 0, 1, vcc
	v_add_u32_e32 v12, 0xfffffc10, v11
	v_cvt_f32_f16_e32 v1, v1
	v_or_b32_e32 v10, v13, v10
	v_lshl_or_b32 v11, v12, 12, v6
	v_cmp_gt_i32_e32 vcc, 1, v12
	v_cndmask_b32_e32 v10, v11, v10, vcc
	v_and_b32_e32 v11, 7, v10
	v_cmp_lt_i32_e32 vcc, 5, v11
	v_cmp_eq_u32_e64 s[2:3], 3, v11
	v_lshrrev_b32_e32 v13, 2, v10
	v_cvt_f64_f32_e32 v[10:11], v1
	s_or_b64 vcc, s[2:3], vcc
	v_addc_co_u32_e32 v1, vcc, 0, v13, vcc
	v_mul_f64 v[10:11], v[10:11], s[12:13]
	v_cmp_gt_i32_e32 vcc, 31, v12
	v_cndmask_b32_e32 v1, v2, v1, vcc
	v_cmp_ne_u32_e32 vcc, 0, v6
	v_cndmask_b32_e64 v6, 0, 1, vcc
	v_lshl_or_b32 v6, v6, 9, v2
	v_cmp_eq_u32_e32 vcc, s14, v12
	v_cndmask_b32_e32 v1, v1, v6, vcc
	v_lshrrev_b32_e32 v6, 16, v7
	v_and_or_b32 v1, v6, s15, v1
	v_and_or_b32 v6, v11, s10, v10
	v_cmp_ne_u32_e32 vcc, 0, v6
	v_cndmask_b32_e64 v6, 0, 1, vcc
	v_lshrrev_b32_e32 v7, 8, v11
	v_bfe_u32 v10, v11, 20, 11
	v_and_or_b32 v6, v7, s11, v6
	v_sub_u32_e32 v12, 0x3f1, v10
	v_or_b32_e32 v7, 0x1000, v6
	v_med3_i32 v12, v12, 0, 13
	v_lshrrev_b32_e32 v13, v12, v7
	v_lshlrev_b32_e32 v12, v12, v13
	v_cmp_ne_u32_e32 vcc, v12, v7
	v_cndmask_b32_e64 v7, 0, 1, vcc
	v_add_u32_e32 v10, 0xfffffc10, v10
	v_or_b32_e32 v7, v13, v7
	v_lshl_or_b32 v12, v10, 12, v6
	v_cmp_gt_i32_e32 vcc, 1, v10
	v_cndmask_b32_e32 v7, v12, v7, vcc
	v_and_b32_e32 v12, 7, v7
	v_cmp_lt_i32_e32 vcc, 5, v12
	v_cmp_eq_u32_e64 s[2:3], 3, v12
	v_lshrrev_b32_e32 v7, 2, v7
	s_or_b64 vcc, s[2:3], vcc
	v_addc_co_u32_e32 v7, vcc, 0, v7, vcc
	v_cmp_gt_i32_e32 vcc, 31, v10
	v_cndmask_b32_e32 v12, v2, v7, vcc
	v_cmp_ne_u32_e32 vcc, 0, v6
	v_cndmask_b32_e64 v6, 0, 1, vcc
	v_lshl_or_b32 v13, v6, 9, v2
	v_add_u32_e32 v6, 0x800, v43
	ds_read2_b32 v[6:7], v6 offset0:28 offset1:109
	v_cmp_eq_u32_e32 vcc, s14, v10
	v_cndmask_b32_e32 v10, v12, v13, vcc
	v_lshrrev_b32_e32 v11, 16, v11
	v_and_or_b32 v12, v11, s15, v10
	s_waitcnt lgkmcnt(0)
	v_lshrrev_b32_e32 v13, 16, v6
	v_mul_f16_sdwa v10, v50, v13 dst_sel:DWORD dst_unused:UNUSED_PAD src0_sel:WORD_1 src1_sel:DWORD
	v_fma_f16 v10, v50, v6, v10
	v_cvt_f32_f16_e32 v10, v10
	s_mul_i32 s2, s9, 0x10e
	s_mul_hi_u32 s3, s8, 0x10e
	s_add_i32 s3, s3, s2
	v_cvt_f64_f32_e32 v[10:11], v10
	s_mul_i32 s2, s8, 0x10e
	v_and_b32_e32 v1, 0xffff, v1
	s_lshl_b64 s[6:7], s[2:3], 2
	v_mul_f64 v[10:11], v[10:11], s[12:13]
	v_lshl_or_b32 v12, v12, 16, v1
	v_mov_b32_e32 v1, s7
	v_add_co_u32_e32 v4, vcc, s6, v4
	v_addc_co_u32_e32 v5, vcc, v5, v1, vcc
	global_store_dword v[4:5], v12, off
	v_and_or_b32 v10, v11, s10, v10
	v_cmp_ne_u32_e32 vcc, 0, v10
	v_cndmask_b32_e64 v10, 0, 1, vcc
	v_lshrrev_b32_e32 v12, 8, v11
	v_bfe_u32 v14, v11, 20, 11
	v_and_or_b32 v10, v12, s11, v10
	v_sub_u32_e32 v15, 0x3f1, v14
	v_or_b32_e32 v12, 0x1000, v10
	v_med3_i32 v15, v15, 0, 13
	v_lshrrev_b32_e32 v16, v15, v12
	v_lshlrev_b32_e32 v15, v15, v16
	v_mul_f16_sdwa v6, v50, v6 dst_sel:DWORD dst_unused:UNUSED_PAD src0_sel:WORD_1 src1_sel:DWORD
	v_cmp_ne_u32_e32 vcc, v15, v12
	v_fma_f16 v6, v50, v13, -v6
	v_cndmask_b32_e64 v12, 0, 1, vcc
	v_add_u32_e32 v14, 0xfffffc10, v14
	v_cvt_f32_f16_e32 v6, v6
	v_or_b32_e32 v12, v16, v12
	v_lshl_or_b32 v15, v14, 12, v10
	v_cmp_gt_i32_e32 vcc, 1, v14
	v_cndmask_b32_e32 v12, v15, v12, vcc
	v_and_b32_e32 v15, 7, v12
	v_cmp_lt_i32_e32 vcc, 5, v15
	v_cmp_eq_u32_e64 s[2:3], 3, v15
	v_lshrrev_b32_e32 v15, 2, v12
	v_cvt_f64_f32_e32 v[12:13], v6
	s_or_b64 vcc, s[2:3], vcc
	v_addc_co_u32_e32 v6, vcc, 0, v15, vcc
	v_mul_f64 v[12:13], v[12:13], s[12:13]
	v_cmp_gt_i32_e32 vcc, 31, v14
	v_cndmask_b32_e32 v6, v2, v6, vcc
	v_cmp_ne_u32_e32 vcc, 0, v10
	v_cndmask_b32_e64 v10, 0, 1, vcc
	v_lshl_or_b32 v10, v10, 9, v2
	v_cmp_eq_u32_e32 vcc, s14, v14
	v_cndmask_b32_e32 v6, v6, v10, vcc
	v_lshrrev_b32_e32 v10, 16, v11
	v_and_or_b32 v6, v10, s15, v6
	v_and_or_b32 v10, v13, s10, v12
	v_cmp_ne_u32_e32 vcc, 0, v10
	v_cndmask_b32_e64 v10, 0, 1, vcc
	v_lshrrev_b32_e32 v11, 8, v13
	v_bfe_u32 v12, v13, 20, 11
	v_and_or_b32 v10, v11, s11, v10
	v_sub_u32_e32 v14, 0x3f1, v12
	v_or_b32_e32 v11, 0x1000, v10
	v_med3_i32 v14, v14, 0, 13
	v_lshrrev_b32_e32 v15, v14, v11
	v_lshlrev_b32_e32 v14, v14, v15
	v_cmp_ne_u32_e32 vcc, v14, v11
	v_cndmask_b32_e64 v11, 0, 1, vcc
	v_add_u32_e32 v12, 0xfffffc10, v12
	v_or_b32_e32 v11, v15, v11
	v_lshl_or_b32 v14, v12, 12, v10
	v_cmp_gt_i32_e32 vcc, 1, v12
	v_cndmask_b32_e32 v11, v14, v11, vcc
	v_and_b32_e32 v14, 7, v11
	v_cmp_lt_i32_e32 vcc, 5, v14
	v_cmp_eq_u32_e64 s[2:3], 3, v14
	v_lshrrev_b32_e32 v11, 2, v11
	s_or_b64 vcc, s[2:3], vcc
	v_addc_co_u32_e32 v11, vcc, 0, v11, vcc
	v_cmp_gt_i32_e32 vcc, 31, v12
	v_lshrrev_b32_e32 v15, 16, v3
	v_cndmask_b32_e32 v14, v2, v11, vcc
	v_mul_f16_sdwa v11, v49, v15 dst_sel:DWORD dst_unused:UNUSED_PAD src0_sel:WORD_1 src1_sel:DWORD
	v_fma_f16 v11, v49, v3, v11
	v_cvt_f32_f16_e32 v11, v11
	v_cmp_ne_u32_e32 vcc, 0, v10
	v_cndmask_b32_e64 v10, 0, 1, vcc
	v_lshl_or_b32 v16, v10, 9, v2
	v_cvt_f64_f32_e32 v[10:11], v11
	v_cmp_eq_u32_e32 vcc, s14, v12
	v_cndmask_b32_e32 v12, v14, v16, vcc
	v_lshrrev_b32_e32 v13, 16, v13
	v_mul_f64 v[10:11], v[10:11], s[12:13]
	v_and_or_b32 v12, v13, s15, v12
	v_and_b32_e32 v6, 0xffff, v6
	v_add_co_u32_e32 v4, vcc, s6, v4
	v_lshl_or_b32 v6, v12, 16, v6
	v_addc_co_u32_e32 v5, vcc, v5, v1, vcc
	global_store_dword v[4:5], v6, off
	v_and_or_b32 v6, v11, s10, v10
	v_cmp_ne_u32_e32 vcc, 0, v6
	v_cndmask_b32_e64 v6, 0, 1, vcc
	v_lshrrev_b32_e32 v10, 8, v11
	v_bfe_u32 v12, v11, 20, 11
	v_and_or_b32 v6, v10, s11, v6
	v_sub_u32_e32 v13, 0x3f1, v12
	v_or_b32_e32 v10, 0x1000, v6
	v_med3_i32 v13, v13, 0, 13
	v_lshrrev_b32_e32 v14, v13, v10
	v_lshlrev_b32_e32 v13, v13, v14
	v_cmp_ne_u32_e32 vcc, v13, v10
	v_mul_f16_sdwa v3, v49, v3 dst_sel:DWORD dst_unused:UNUSED_PAD src0_sel:WORD_1 src1_sel:DWORD
	v_cndmask_b32_e64 v10, 0, 1, vcc
	v_fma_f16 v3, v49, v15, -v3
	v_or_b32_e32 v10, v14, v10
	v_add_u32_e32 v14, 0xfffffc10, v12
	v_cvt_f32_f16_e32 v3, v3
	v_lshl_or_b32 v12, v14, 12, v6
	v_cmp_gt_i32_e32 vcc, 1, v14
	v_cndmask_b32_e32 v10, v12, v10, vcc
	v_and_b32_e32 v12, 7, v10
	v_cmp_lt_i32_e32 vcc, 5, v12
	v_cmp_eq_u32_e64 s[2:3], 3, v12
	v_cvt_f64_f32_e32 v[12:13], v3
	v_lshrrev_b32_e32 v10, 2, v10
	s_or_b64 vcc, s[2:3], vcc
	v_addc_co_u32_e32 v3, vcc, 0, v10, vcc
	v_mul_f64 v[12:13], v[12:13], s[12:13]
	v_cmp_gt_i32_e32 vcc, 31, v14
	v_cndmask_b32_e32 v3, v2, v3, vcc
	v_cmp_ne_u32_e32 vcc, 0, v6
	v_cndmask_b32_e64 v6, 0, 1, vcc
	v_lshl_or_b32 v6, v6, 9, v2
	v_cmp_eq_u32_e32 vcc, s14, v14
	v_cndmask_b32_e32 v3, v3, v6, vcc
	v_lshrrev_b32_e32 v6, 16, v11
	v_and_or_b32 v3, v6, s15, v3
	v_and_or_b32 v6, v13, s10, v12
	v_cmp_ne_u32_e32 vcc, 0, v6
	v_cndmask_b32_e64 v6, 0, 1, vcc
	v_lshrrev_b32_e32 v10, 8, v13
	v_bfe_u32 v11, v13, 20, 11
	v_and_or_b32 v6, v10, s11, v6
	v_sub_u32_e32 v12, 0x3f1, v11
	v_or_b32_e32 v10, 0x1000, v6
	v_med3_i32 v12, v12, 0, 13
	v_lshrrev_b32_e32 v14, v12, v10
	v_lshlrev_b32_e32 v12, v12, v14
	v_cmp_ne_u32_e32 vcc, v12, v10
	v_cndmask_b32_e64 v10, 0, 1, vcc
	v_add_u32_e32 v12, 0xfffffc10, v11
	v_or_b32_e32 v10, v14, v10
	v_lshl_or_b32 v11, v12, 12, v6
	v_cmp_gt_i32_e32 vcc, 1, v12
	v_cndmask_b32_e32 v10, v11, v10, vcc
	v_and_b32_e32 v11, 7, v10
	v_cmp_lt_i32_e32 vcc, 5, v11
	v_cmp_eq_u32_e64 s[2:3], 3, v11
	v_lshrrev_b32_e32 v10, 2, v10
	s_or_b64 vcc, s[2:3], vcc
	v_addc_co_u32_e32 v10, vcc, 0, v10, vcc
	v_cmp_gt_i32_e32 vcc, 31, v12
	v_cndmask_b32_e32 v14, v2, v10, vcc
	v_add_u32_e32 v10, 0x400, v43
	ds_read2_b32 v[10:11], v10 offset0:95 offset1:176
	v_cmp_ne_u32_e32 vcc, 0, v6
	v_cndmask_b32_e64 v6, 0, 1, vcc
	v_lshl_or_b32 v6, v6, 9, v2
	v_cmp_eq_u32_e32 vcc, s14, v12
	v_cndmask_b32_e32 v6, v14, v6, vcc
	v_lshrrev_b32_e32 v12, 16, v13
	s_waitcnt lgkmcnt(0)
	v_lshrrev_b32_e32 v14, 16, v10
	v_and_or_b32 v6, v12, s15, v6
	v_mul_f16_sdwa v12, v48, v14 dst_sel:DWORD dst_unused:UNUSED_PAD src0_sel:WORD_1 src1_sel:DWORD
	v_fma_f16 v12, v48, v10, v12
	v_cvt_f32_f16_e32 v12, v12
	s_mul_hi_u32 s3, s8, 0xfffffe35
	s_mul_i32 s2, s9, 0xfffffe35
	s_sub_i32 s3, s3, s8
	v_cvt_f64_f32_e32 v[12:13], v12
	s_add_i32 s3, s3, s2
	s_mul_i32 s2, s8, 0xfffffe35
	v_and_b32_e32 v3, 0xffff, v3
	v_mul_f64 v[12:13], v[12:13], s[12:13]
	s_lshl_b64 s[4:5], s[2:3], 2
	v_lshl_or_b32 v6, v6, 16, v3
	v_mov_b32_e32 v15, s5
	v_add_co_u32_e32 v3, vcc, s4, v4
	v_addc_co_u32_e32 v4, vcc, v5, v15, vcc
	v_and_or_b32 v5, v13, s10, v12
	v_cmp_ne_u32_e32 vcc, 0, v5
	global_store_dword v[3:4], v6, off
	v_cndmask_b32_e64 v5, 0, 1, vcc
	v_lshrrev_b32_e32 v6, 8, v13
	v_and_or_b32 v12, v6, s11, v5
	v_bfe_u32 v6, v13, 20, 11
	v_sub_u32_e32 v16, 0x3f1, v6
	v_or_b32_e32 v5, 0x1000, v12
	v_med3_i32 v16, v16, 0, 13
	v_lshrrev_b32_e32 v17, v16, v5
	v_lshlrev_b32_e32 v16, v16, v17
	v_mul_f16_sdwa v10, v48, v10 dst_sel:DWORD dst_unused:UNUSED_PAD src0_sel:WORD_1 src1_sel:DWORD
	v_cmp_ne_u32_e32 vcc, v16, v5
	v_fma_f16 v10, v48, v14, -v10
	v_cndmask_b32_e64 v5, 0, 1, vcc
	v_add_u32_e32 v16, 0xfffffc10, v6
	v_cvt_f32_f16_e32 v10, v10
	v_or_b32_e32 v5, v17, v5
	v_lshl_or_b32 v6, v16, 12, v12
	v_cmp_gt_i32_e32 vcc, 1, v16
	v_cndmask_b32_e32 v5, v6, v5, vcc
	v_and_b32_e32 v6, 7, v5
	v_cmp_lt_i32_e32 vcc, 5, v6
	v_cmp_eq_u32_e64 s[2:3], 3, v6
	v_lshrrev_b32_e32 v14, 2, v5
	v_cvt_f64_f32_e32 v[5:6], v10
	s_or_b64 vcc, s[2:3], vcc
	v_addc_co_u32_e32 v10, vcc, 0, v14, vcc
	v_mul_f64 v[5:6], v[5:6], s[12:13]
	v_cmp_gt_i32_e32 vcc, 31, v16
	v_cndmask_b32_e32 v10, v2, v10, vcc
	v_cmp_ne_u32_e32 vcc, 0, v12
	v_cndmask_b32_e64 v12, 0, 1, vcc
	v_lshl_or_b32 v12, v12, 9, v2
	v_cmp_eq_u32_e32 vcc, s14, v16
	v_cndmask_b32_e32 v10, v10, v12, vcc
	v_and_or_b32 v5, v6, s10, v5
	v_lshrrev_b32_e32 v12, 16, v13
	v_cmp_ne_u32_e32 vcc, 0, v5
	v_and_or_b32 v10, v12, s15, v10
	v_cndmask_b32_e64 v5, 0, 1, vcc
	v_lshrrev_b32_e32 v12, 8, v6
	v_bfe_u32 v13, v6, 20, 11
	v_and_or_b32 v5, v12, s11, v5
	v_sub_u32_e32 v14, 0x3f1, v13
	v_or_b32_e32 v12, 0x1000, v5
	v_med3_i32 v14, v14, 0, 13
	v_lshrrev_b32_e32 v16, v14, v12
	v_lshlrev_b32_e32 v14, v14, v16
	v_cmp_ne_u32_e32 vcc, v14, v12
	v_cndmask_b32_e64 v12, 0, 1, vcc
	v_add_u32_e32 v14, 0xfffffc10, v13
	v_or_b32_e32 v12, v16, v12
	v_lshl_or_b32 v13, v14, 12, v5
	v_cmp_gt_i32_e32 vcc, 1, v14
	v_cndmask_b32_e32 v12, v13, v12, vcc
	v_and_b32_e32 v13, 7, v12
	v_cmp_lt_i32_e32 vcc, 5, v13
	v_cmp_eq_u32_e64 s[2:3], 3, v13
	v_lshrrev_b32_e32 v12, 2, v12
	s_or_b64 vcc, s[2:3], vcc
	v_addc_co_u32_e32 v12, vcc, 0, v12, vcc
	v_cmp_gt_i32_e32 vcc, 31, v14
	v_lshrrev_b32_e32 v17, 16, v7
	v_cndmask_b32_e32 v16, v2, v12, vcc
	v_mul_f16_sdwa v12, v47, v17 dst_sel:DWORD dst_unused:UNUSED_PAD src0_sel:WORD_1 src1_sel:DWORD
	v_fma_f16 v12, v47, v7, v12
	v_cvt_f32_f16_e32 v12, v12
	v_cmp_ne_u32_e32 vcc, 0, v5
	v_cndmask_b32_e64 v5, 0, 1, vcc
	v_lshl_or_b32 v5, v5, 9, v2
	v_cvt_f64_f32_e32 v[12:13], v12
	v_cmp_eq_u32_e32 vcc, s14, v14
	v_cndmask_b32_e32 v5, v16, v5, vcc
	v_lshrrev_b32_e32 v6, 16, v6
	v_and_or_b32 v14, v6, s15, v5
	v_mul_f64 v[5:6], v[12:13], s[12:13]
	v_add_co_u32_e32 v3, vcc, s6, v3
	v_and_b32_e32 v10, 0xffff, v10
	v_addc_co_u32_e32 v4, vcc, v4, v1, vcc
	v_lshl_or_b32 v10, v14, 16, v10
	global_store_dword v[3:4], v10, off
	v_and_or_b32 v5, v6, s10, v5
	v_cmp_ne_u32_e32 vcc, 0, v5
	v_cndmask_b32_e64 v5, 0, 1, vcc
	v_lshrrev_b32_e32 v10, 8, v6
	v_bfe_u32 v12, v6, 20, 11
	v_and_or_b32 v5, v10, s11, v5
	v_sub_u32_e32 v13, 0x3f1, v12
	v_or_b32_e32 v10, 0x1000, v5
	v_med3_i32 v13, v13, 0, 13
	v_lshrrev_b32_e32 v14, v13, v10
	v_lshlrev_b32_e32 v13, v13, v14
	v_cmp_ne_u32_e32 vcc, v13, v10
	v_mul_f16_sdwa v7, v47, v7 dst_sel:DWORD dst_unused:UNUSED_PAD src0_sel:WORD_1 src1_sel:DWORD
	v_cndmask_b32_e64 v10, 0, 1, vcc
	v_fma_f16 v7, v47, v17, -v7
	v_or_b32_e32 v10, v14, v10
	v_add_u32_e32 v14, 0xfffffc10, v12
	v_cvt_f32_f16_e32 v7, v7
	v_lshl_or_b32 v12, v14, 12, v5
	v_cmp_gt_i32_e32 vcc, 1, v14
	v_cndmask_b32_e32 v10, v12, v10, vcc
	v_and_b32_e32 v12, 7, v10
	v_cmp_lt_i32_e32 vcc, 5, v12
	v_cmp_eq_u32_e64 s[2:3], 3, v12
	v_cvt_f64_f32_e32 v[12:13], v7
	v_lshrrev_b32_e32 v10, 2, v10
	s_or_b64 vcc, s[2:3], vcc
	v_addc_co_u32_e32 v7, vcc, 0, v10, vcc
	v_mul_f64 v[12:13], v[12:13], s[12:13]
	v_cmp_gt_i32_e32 vcc, 31, v14
	v_cndmask_b32_e32 v7, v2, v7, vcc
	v_cmp_ne_u32_e32 vcc, 0, v5
	v_cndmask_b32_e64 v5, 0, 1, vcc
	v_lshl_or_b32 v5, v5, 9, v2
	v_cmp_eq_u32_e32 vcc, s14, v14
	v_cndmask_b32_e32 v5, v7, v5, vcc
	v_lshrrev_b32_e32 v6, 16, v6
	v_and_or_b32 v7, v6, s15, v5
	v_and_or_b32 v5, v13, s10, v12
	v_cmp_ne_u32_e32 vcc, 0, v5
	v_cndmask_b32_e64 v5, 0, 1, vcc
	v_lshrrev_b32_e32 v6, 8, v13
	v_bfe_u32 v10, v13, 20, 11
	v_and_or_b32 v5, v6, s11, v5
	v_sub_u32_e32 v12, 0x3f1, v10
	v_or_b32_e32 v6, 0x1000, v5
	v_med3_i32 v12, v12, 0, 13
	v_lshrrev_b32_e32 v14, v12, v6
	v_lshlrev_b32_e32 v12, v12, v14
	v_cmp_ne_u32_e32 vcc, v12, v6
	v_cndmask_b32_e64 v6, 0, 1, vcc
	v_add_u32_e32 v10, 0xfffffc10, v10
	v_or_b32_e32 v6, v14, v6
	v_lshl_or_b32 v12, v10, 12, v5
	v_cmp_gt_i32_e32 vcc, 1, v10
	v_cndmask_b32_e32 v6, v12, v6, vcc
	v_and_b32_e32 v12, 7, v6
	v_cmp_lt_i32_e32 vcc, 5, v12
	v_cmp_eq_u32_e64 s[2:3], 3, v12
	v_lshrrev_b32_e32 v6, 2, v6
	s_or_b64 vcc, s[2:3], vcc
	v_addc_co_u32_e32 v6, vcc, 0, v6, vcc
	v_cmp_gt_i32_e32 vcc, 31, v10
	v_lshrrev_b32_e32 v14, 16, v0
	v_cndmask_b32_e32 v12, v2, v6, vcc
	v_mul_f16_sdwa v6, v46, v14 dst_sel:DWORD dst_unused:UNUSED_PAD src0_sel:WORD_1 src1_sel:DWORD
	v_fma_f16 v6, v46, v0, v6
	v_cvt_f32_f16_e32 v6, v6
	v_cmp_ne_u32_e32 vcc, 0, v5
	v_cndmask_b32_e64 v5, 0, 1, vcc
	v_lshl_or_b32 v16, v5, 9, v2
	v_cvt_f64_f32_e32 v[5:6], v6
	v_cmp_eq_u32_e32 vcc, s14, v10
	v_cndmask_b32_e32 v10, v12, v16, vcc
	v_lshrrev_b32_e32 v12, 16, v13
	v_mul_f64 v[5:6], v[5:6], s[12:13]
	v_add_co_u32_e32 v3, vcc, s6, v3
	v_and_or_b32 v10, v12, s15, v10
	v_and_b32_e32 v7, 0xffff, v7
	v_addc_co_u32_e32 v4, vcc, v4, v1, vcc
	v_lshl_or_b32 v7, v10, 16, v7
	v_and_or_b32 v5, v6, s10, v5
	v_cmp_ne_u32_e32 vcc, 0, v5
	global_store_dword v[3:4], v7, off
	v_cndmask_b32_e64 v5, 0, 1, vcc
	v_lshrrev_b32_e32 v7, 8, v6
	v_bfe_u32 v10, v6, 20, 11
	v_and_or_b32 v5, v7, s11, v5
	v_sub_u32_e32 v12, 0x3f1, v10
	v_or_b32_e32 v7, 0x1000, v5
	v_med3_i32 v12, v12, 0, 13
	v_lshrrev_b32_e32 v13, v12, v7
	v_lshlrev_b32_e32 v12, v12, v13
	v_mul_f16_sdwa v0, v46, v0 dst_sel:DWORD dst_unused:UNUSED_PAD src0_sel:WORD_1 src1_sel:DWORD
	v_cmp_ne_u32_e32 vcc, v12, v7
	v_fma_f16 v0, v46, v14, -v0
	v_cndmask_b32_e64 v7, 0, 1, vcc
	v_add_u32_e32 v10, 0xfffffc10, v10
	v_cvt_f32_f16_e32 v0, v0
	v_or_b32_e32 v7, v13, v7
	v_lshl_or_b32 v12, v10, 12, v5
	v_cmp_gt_i32_e32 vcc, 1, v10
	v_cndmask_b32_e32 v7, v12, v7, vcc
	v_and_b32_e32 v12, 7, v7
	v_cmp_lt_i32_e32 vcc, 5, v12
	v_cmp_eq_u32_e64 s[2:3], 3, v12
	v_cvt_f64_f32_e32 v[12:13], v0
	v_lshrrev_b32_e32 v7, 2, v7
	s_or_b64 vcc, s[2:3], vcc
	v_addc_co_u32_e32 v0, vcc, 0, v7, vcc
	v_mul_f64 v[12:13], v[12:13], s[12:13]
	v_cmp_gt_i32_e32 vcc, 31, v10
	v_cndmask_b32_e32 v0, v2, v0, vcc
	v_cmp_ne_u32_e32 vcc, 0, v5
	v_cndmask_b32_e64 v5, 0, 1, vcc
	v_lshl_or_b32 v5, v5, 9, v2
	v_cmp_eq_u32_e32 vcc, s14, v10
	v_cndmask_b32_e32 v0, v0, v5, vcc
	v_lshrrev_b32_e32 v5, 16, v6
	v_and_or_b32 v0, v5, s15, v0
	v_and_or_b32 v5, v13, s10, v12
	v_cmp_ne_u32_e32 vcc, 0, v5
	v_cndmask_b32_e64 v5, 0, 1, vcc
	v_lshrrev_b32_e32 v6, 8, v13
	v_bfe_u32 v7, v13, 20, 11
	v_and_or_b32 v5, v6, s11, v5
	v_sub_u32_e32 v10, 0x3f1, v7
	v_or_b32_e32 v6, 0x1000, v5
	v_med3_i32 v10, v10, 0, 13
	v_lshrrev_b32_e32 v12, v10, v6
	v_lshlrev_b32_e32 v10, v10, v12
	v_cmp_ne_u32_e32 vcc, v10, v6
	v_cndmask_b32_e64 v6, 0, 1, vcc
	v_add_u32_e32 v7, 0xfffffc10, v7
	v_or_b32_e32 v6, v12, v6
	v_lshl_or_b32 v10, v7, 12, v5
	v_cmp_gt_i32_e32 vcc, 1, v7
	v_cndmask_b32_e32 v6, v10, v6, vcc
	v_and_b32_e32 v10, 7, v6
	v_cmp_lt_i32_e32 vcc, 5, v10
	v_cmp_eq_u32_e64 s[2:3], 3, v10
	v_lshrrev_b32_e32 v6, 2, v6
	s_or_b64 vcc, s[2:3], vcc
	v_addc_co_u32_e32 v6, vcc, 0, v6, vcc
	v_cmp_gt_i32_e32 vcc, 31, v7
	v_lshrrev_b32_e32 v12, 16, v11
	v_cndmask_b32_e32 v10, v2, v6, vcc
	v_mul_f16_sdwa v6, v45, v12 dst_sel:DWORD dst_unused:UNUSED_PAD src0_sel:WORD_1 src1_sel:DWORD
	v_fma_f16 v6, v45, v11, v6
	v_cvt_f32_f16_e32 v6, v6
	v_cmp_ne_u32_e32 vcc, 0, v5
	v_cndmask_b32_e64 v5, 0, 1, vcc
	v_lshl_or_b32 v14, v5, 9, v2
	v_cvt_f64_f32_e32 v[5:6], v6
	v_cmp_eq_u32_e32 vcc, s14, v7
	v_cndmask_b32_e32 v7, v10, v14, vcc
	v_lshrrev_b32_e32 v10, 16, v13
	v_mul_f64 v[5:6], v[5:6], s[12:13]
	v_and_or_b32 v7, v10, s15, v7
	v_and_b32_e32 v0, 0xffff, v0
	v_add_co_u32_e32 v3, vcc, s4, v3
	v_lshl_or_b32 v0, v7, 16, v0
	v_addc_co_u32_e32 v4, vcc, v4, v15, vcc
	global_store_dword v[3:4], v0, off
	v_and_or_b32 v0, v6, s10, v5
	v_cmp_ne_u32_e32 vcc, 0, v0
	v_cndmask_b32_e64 v0, 0, 1, vcc
	v_lshrrev_b32_e32 v5, 8, v6
	v_bfe_u32 v7, v6, 20, 11
	v_and_or_b32 v0, v5, s11, v0
	v_sub_u32_e32 v10, 0x3f1, v7
	v_or_b32_e32 v5, 0x1000, v0
	v_med3_i32 v10, v10, 0, 13
	v_lshrrev_b32_e32 v13, v10, v5
	v_lshlrev_b32_e32 v10, v10, v13
	v_mul_f16_sdwa v11, v45, v11 dst_sel:DWORD dst_unused:UNUSED_PAD src0_sel:WORD_1 src1_sel:DWORD
	v_cmp_ne_u32_e32 vcc, v10, v5
	v_fma_f16 v11, v45, v12, -v11
	v_cndmask_b32_e64 v5, 0, 1, vcc
	v_add_u32_e32 v7, 0xfffffc10, v7
	v_cvt_f32_f16_e32 v11, v11
	v_or_b32_e32 v5, v13, v5
	v_lshl_or_b32 v10, v7, 12, v0
	v_cmp_gt_i32_e32 vcc, 1, v7
	v_cndmask_b32_e32 v5, v10, v5, vcc
	v_and_b32_e32 v10, 7, v5
	v_cmp_lt_i32_e32 vcc, 5, v10
	v_cmp_eq_u32_e64 s[2:3], 3, v10
	v_cvt_f64_f32_e32 v[10:11], v11
	v_lshrrev_b32_e32 v5, 2, v5
	s_or_b64 vcc, s[2:3], vcc
	v_addc_co_u32_e32 v5, vcc, 0, v5, vcc
	v_mul_f64 v[10:11], v[10:11], s[12:13]
	v_cmp_gt_i32_e32 vcc, 31, v7
	v_cndmask_b32_e32 v5, v2, v5, vcc
	v_cmp_ne_u32_e32 vcc, 0, v0
	v_cndmask_b32_e64 v0, 0, 1, vcc
	v_lshl_or_b32 v0, v0, 9, v2
	v_cmp_eq_u32_e32 vcc, s14, v7
	v_cndmask_b32_e32 v0, v5, v0, vcc
	v_lshrrev_b32_e32 v5, 16, v6
	v_and_or_b32 v0, v5, s15, v0
	v_and_or_b32 v5, v11, s10, v10
	v_cmp_ne_u32_e32 vcc, 0, v5
	v_cndmask_b32_e64 v5, 0, 1, vcc
	v_lshrrev_b32_e32 v6, 8, v11
	v_bfe_u32 v7, v11, 20, 11
	v_and_or_b32 v5, v6, s11, v5
	v_sub_u32_e32 v10, 0x3f1, v7
	v_or_b32_e32 v6, 0x1000, v5
	v_med3_i32 v10, v10, 0, 13
	v_lshrrev_b32_e32 v12, v10, v6
	v_lshlrev_b32_e32 v10, v10, v12
	v_cmp_ne_u32_e32 vcc, v10, v6
	v_cndmask_b32_e64 v6, 0, 1, vcc
	v_add_u32_e32 v7, 0xfffffc10, v7
	v_or_b32_e32 v6, v12, v6
	v_lshl_or_b32 v10, v7, 12, v5
	v_cmp_gt_i32_e32 vcc, 1, v7
	v_cndmask_b32_e32 v6, v10, v6, vcc
	v_and_b32_e32 v10, 7, v6
	v_cmp_lt_i32_e32 vcc, 5, v10
	v_cmp_eq_u32_e64 s[2:3], 3, v10
	ds_read_b32 v10, v43 offset:2808
	v_lshrrev_b32_e32 v6, 2, v6
	s_or_b64 vcc, s[2:3], vcc
	v_addc_co_u32_e32 v6, vcc, 0, v6, vcc
	v_cmp_gt_i32_e32 vcc, 31, v7
	s_waitcnt lgkmcnt(0)
	v_lshrrev_b32_e32 v13, 16, v10
	v_cndmask_b32_e32 v12, v2, v6, vcc
	v_mul_f16_sdwa v6, v44, v13 dst_sel:DWORD dst_unused:UNUSED_PAD src0_sel:WORD_1 src1_sel:DWORD
	v_fma_f16 v6, v44, v10, v6
	v_cvt_f32_f16_e32 v6, v6
	v_cmp_ne_u32_e32 vcc, 0, v5
	v_cndmask_b32_e64 v5, 0, 1, vcc
	v_lshl_or_b32 v14, v5, 9, v2
	v_cvt_f64_f32_e32 v[5:6], v6
	v_cmp_eq_u32_e32 vcc, s14, v7
	v_cndmask_b32_e32 v7, v12, v14, vcc
	v_lshrrev_b32_e32 v11, 16, v11
	v_mul_f64 v[5:6], v[5:6], s[12:13]
	v_and_or_b32 v7, v11, s15, v7
	v_and_b32_e32 v0, 0xffff, v0
	v_add_co_u32_e32 v3, vcc, s6, v3
	v_lshl_or_b32 v0, v7, 16, v0
	v_addc_co_u32_e32 v4, vcc, v4, v1, vcc
	global_store_dword v[3:4], v0, off
	v_and_or_b32 v0, v6, s10, v5
	v_cmp_ne_u32_e32 vcc, 0, v0
	v_cndmask_b32_e64 v0, 0, 1, vcc
	v_lshrrev_b32_e32 v5, 8, v6
	v_bfe_u32 v7, v6, 20, 11
	v_and_or_b32 v0, v5, s11, v0
	v_sub_u32_e32 v11, 0x3f1, v7
	v_or_b32_e32 v5, 0x1000, v0
	v_med3_i32 v11, v11, 0, 13
	v_lshrrev_b32_e32 v12, v11, v5
	v_lshlrev_b32_e32 v11, v11, v12
	v_mul_f16_sdwa v10, v44, v10 dst_sel:DWORD dst_unused:UNUSED_PAD src0_sel:WORD_1 src1_sel:DWORD
	v_cmp_ne_u32_e32 vcc, v11, v5
	v_fma_f16 v10, v44, v13, -v10
	v_cndmask_b32_e64 v5, 0, 1, vcc
	v_add_u32_e32 v7, 0xfffffc10, v7
	v_cvt_f32_f16_e32 v10, v10
	v_or_b32_e32 v5, v12, v5
	v_lshl_or_b32 v11, v7, 12, v0
	v_cmp_gt_i32_e32 vcc, 1, v7
	v_cndmask_b32_e32 v5, v11, v5, vcc
	v_and_b32_e32 v11, 7, v5
	v_cmp_lt_i32_e32 vcc, 5, v11
	v_cmp_eq_u32_e64 s[2:3], 3, v11
	v_cvt_f64_f32_e32 v[10:11], v10
	v_lshrrev_b32_e32 v5, 2, v5
	s_or_b64 vcc, s[2:3], vcc
	v_addc_co_u32_e32 v5, vcc, 0, v5, vcc
	v_mul_f64 v[10:11], v[10:11], s[12:13]
	v_cmp_gt_i32_e32 vcc, 31, v7
	v_cndmask_b32_e32 v5, v2, v5, vcc
	v_cmp_ne_u32_e32 vcc, 0, v0
	v_cndmask_b32_e64 v0, 0, 1, vcc
	v_lshl_or_b32 v0, v0, 9, v2
	v_cmp_eq_u32_e32 vcc, s14, v7
	v_cndmask_b32_e32 v0, v5, v0, vcc
	v_lshrrev_b32_e32 v5, 16, v6
	v_and_or_b32 v0, v5, s15, v0
	v_and_or_b32 v5, v11, s10, v10
	v_cmp_ne_u32_e32 vcc, 0, v5
	v_cndmask_b32_e64 v5, 0, 1, vcc
	v_lshrrev_b32_e32 v6, 8, v11
	v_bfe_u32 v7, v11, 20, 11
	v_and_or_b32 v5, v6, s11, v5
	v_sub_u32_e32 v10, 0x3f1, v7
	v_or_b32_e32 v6, 0x1000, v5
	v_med3_i32 v10, v10, 0, 13
	v_lshrrev_b32_e32 v12, v10, v6
	v_lshlrev_b32_e32 v10, v10, v12
	v_cmp_ne_u32_e32 vcc, v10, v6
	v_cndmask_b32_e64 v6, 0, 1, vcc
	v_add_u32_e32 v7, 0xfffffc10, v7
	v_or_b32_e32 v6, v12, v6
	v_lshl_or_b32 v10, v7, 12, v5
	v_cmp_gt_i32_e32 vcc, 1, v7
	v_cndmask_b32_e32 v6, v10, v6, vcc
	v_and_b32_e32 v10, 7, v6
	v_cmp_lt_i32_e32 vcc, 5, v10
	v_cmp_eq_u32_e64 s[2:3], 3, v10
	v_lshrrev_b32_e32 v6, 2, v6
	s_or_b64 vcc, s[2:3], vcc
	v_addc_co_u32_e32 v6, vcc, 0, v6, vcc
	v_cmp_gt_i32_e32 vcc, 31, v7
	v_cndmask_b32_e32 v6, v2, v6, vcc
	v_cmp_ne_u32_e32 vcc, 0, v5
	v_cndmask_b32_e64 v5, 0, 1, vcc
	v_lshl_or_b32 v5, v5, 9, v2
	v_cmp_eq_u32_e32 vcc, s14, v7
	v_cndmask_b32_e32 v5, v6, v5, vcc
	v_lshrrev_b32_e32 v6, 16, v11
	v_and_or_b32 v5, v6, s15, v5
	v_and_b32_e32 v0, 0xffff, v0
	v_lshl_or_b32 v5, v5, 16, v0
	v_add_co_u32_e32 v0, vcc, s6, v3
	v_addc_co_u32_e32 v1, vcc, v4, v1, vcc
	global_store_dword v[0:1], v5, off
	s_and_b64 exec, exec, s[0:1]
	s_cbranch_execz .LBB0_39
; %bb.38:
	global_load_dword v3, v[8:9], off offset:972
	global_load_dword v10, v[8:9], off offset:2052
	ds_read_b32 v4, v43 offset:972
	ds_read_b32 v11, v43 offset:2052
	;; [unrolled: 1-line block ×3, first 2 shown]
	global_load_dword v9, v[8:9], off offset:3132
	v_mov_b32_e32 v14, s5
	s_waitcnt lgkmcnt(2)
	v_lshrrev_b32_e32 v5, 16, v4
	s_waitcnt lgkmcnt(1)
	v_lshrrev_b32_e32 v13, 16, v11
	v_add_co_u32_e32 v0, vcc, s4, v0
	v_addc_co_u32_e32 v1, vcc, v1, v14, vcc
	s_waitcnt vmcnt(2)
	v_mul_f16_sdwa v6, v5, v3 dst_sel:DWORD dst_unused:UNUSED_PAD src0_sel:DWORD src1_sel:WORD_1
	v_mul_f16_sdwa v7, v4, v3 dst_sel:DWORD dst_unused:UNUSED_PAD src0_sel:DWORD src1_sel:WORD_1
	v_fma_f16 v4, v4, v3, v6
	s_waitcnt vmcnt(1)
	v_mul_f16_sdwa v8, v13, v10 dst_sel:DWORD dst_unused:UNUSED_PAD src0_sel:DWORD src1_sel:WORD_1
	v_cvt_f32_f16_e32 v4, v4
	v_fma_f16 v3, v3, v5, -v7
	v_cvt_f32_f16_e32 v5, v3
	v_fma_f16 v6, v11, v10, v8
	v_cvt_f32_f16_e32 v7, v6
	v_cvt_f64_f32_e32 v[3:4], v4
	v_cvt_f64_f32_e32 v[5:6], v5
	;; [unrolled: 1-line block ×3, first 2 shown]
	v_mul_f64 v[3:4], v[3:4], s[12:13]
	v_mul_f64 v[5:6], v[5:6], s[12:13]
	;; [unrolled: 1-line block ×3, first 2 shown]
	v_and_or_b32 v3, v4, s10, v3
	v_and_or_b32 v5, v6, s10, v5
	v_cmp_ne_u32_e32 vcc, 0, v3
	v_lshrrev_b32_e32 v14, 8, v4
	v_bfe_u32 v15, v4, 20, 11
	v_and_or_b32 v7, v8, s10, v7
	v_cndmask_b32_e64 v3, 0, 1, vcc
	v_cmp_ne_u32_e32 vcc, 0, v5
	v_lshrrev_b32_e32 v16, 8, v6
	v_bfe_u32 v17, v6, 20, 11
	v_bfe_u32 v19, v8, 20, 11
	v_sub_u32_e32 v20, 0x3f1, v15
	v_cndmask_b32_e64 v5, 0, 1, vcc
	v_cmp_ne_u32_e32 vcc, 0, v7
	v_and_or_b32 v3, v14, s11, v3
	v_lshrrev_b32_e32 v18, 8, v8
	v_sub_u32_e32 v21, 0x3f1, v17
	v_cndmask_b32_e64 v7, 0, 1, vcc
	v_sub_u32_e32 v22, 0x3f1, v19
	v_med3_i32 v14, v20, 0, 13
	v_and_or_b32 v5, v16, s11, v5
	v_or_b32_e32 v20, 0x1000, v3
	v_add_u32_e32 v15, 0xfffffc10, v15
	v_med3_i32 v16, v21, 0, 13
	v_and_or_b32 v7, v18, s11, v7
	v_med3_i32 v18, v22, 0, 13
	v_cmp_ne_u32_e32 vcc, 0, v3
	v_or_b32_e32 v22, 0x1000, v5
	v_lshrrev_b32_e32 v26, v14, v20
	v_add_u32_e32 v17, 0xfffffc10, v17
	v_lshl_or_b32 v21, v15, 12, v3
	v_cndmask_b32_e64 v3, 0, 1, vcc
	v_cmp_ne_u32_e32 vcc, 0, v5
	v_or_b32_e32 v24, 0x1000, v7
	v_lshrrev_b32_e32 v27, v16, v22
	v_lshlrev_b32_e32 v14, v14, v26
	v_lshl_or_b32 v23, v17, 12, v5
	v_cndmask_b32_e64 v5, 0, 1, vcc
	v_lshrrev_b32_e32 v28, v18, v24
	v_lshlrev_b32_e32 v16, v16, v27
	v_cmp_ne_u32_e32 vcc, v14, v20
	v_lshlrev_b32_e32 v18, v18, v28
	v_cndmask_b32_e64 v14, 0, 1, vcc
	v_cmp_ne_u32_e32 vcc, v16, v22
	v_cndmask_b32_e64 v16, 0, 1, vcc
	v_cmp_ne_u32_e32 vcc, v18, v24
	v_cndmask_b32_e64 v18, 0, 1, vcc
	v_or_b32_e32 v14, v26, v14
	v_cmp_gt_i32_e32 vcc, 1, v15
	v_cndmask_b32_e32 v14, v21, v14, vcc
	v_or_b32_e32 v16, v27, v16
	v_cmp_gt_i32_e32 vcc, 1, v17
	v_and_b32_e32 v20, 7, v14
	v_cndmask_b32_e32 v16, v23, v16, vcc
	v_cmp_lt_i32_e32 vcc, 5, v20
	v_cmp_eq_u32_e64 s[0:1], 3, v20
	v_lshrrev_b32_e32 v14, 2, v14
	v_and_b32_e32 v21, 7, v16
	s_or_b64 vcc, s[0:1], vcc
	v_cmp_lt_i32_e64 s[2:3], 5, v21
	v_cmp_eq_u32_e64 s[4:5], 3, v21
	v_addc_co_u32_e32 v14, vcc, 0, v14, vcc
	v_lshrrev_b32_e32 v16, 2, v16
	s_or_b64 vcc, s[4:5], s[2:3]
	v_addc_co_u32_e32 v16, vcc, 0, v16, vcc
	v_cmp_gt_i32_e32 vcc, 31, v15
	v_cndmask_b32_e32 v14, v2, v14, vcc
	v_cmp_gt_i32_e32 vcc, 31, v17
	v_lshl_or_b32 v3, v3, 9, v2
	v_cndmask_b32_e32 v16, v2, v16, vcc
	v_cmp_eq_u32_e32 vcc, s14, v15
	v_lshl_or_b32 v5, v5, 9, v2
	v_cndmask_b32_e32 v3, v14, v3, vcc
	v_cmp_eq_u32_e32 vcc, s14, v17
	v_lshrrev_b32_e32 v4, 16, v4
	v_lshrrev_b32_e32 v6, 16, v6
	v_cndmask_b32_e32 v5, v16, v5, vcc
	v_and_or_b32 v3, v4, s15, v3
	v_and_or_b32 v4, v6, s15, v5
	v_mul_f16_sdwa v5, v11, v10 dst_sel:DWORD dst_unused:UNUSED_PAD src0_sel:DWORD src1_sel:WORD_1
	v_fma_f16 v5, v10, v13, -v5
	v_add_u32_e32 v19, 0xfffffc10, v19
	v_and_b32_e32 v3, 0xffff, v3
	v_cvt_f32_f16_e32 v5, v5
	v_lshl_or_b32 v25, v19, 12, v7
	v_or_b32_e32 v18, v28, v18
	v_lshl_or_b32 v3, v4, 16, v3
	v_cmp_gt_i32_e32 vcc, 1, v19
	global_store_dword v[0:1], v3, off
	v_cndmask_b32_e32 v3, v25, v18, vcc
	v_and_b32_e32 v4, 7, v3
	v_cmp_lt_i32_e32 vcc, 5, v4
	v_cmp_eq_u32_e64 s[0:1], 3, v4
	v_lshrrev_b32_e32 v6, 2, v3
	v_cvt_f64_f32_e32 v[3:4], v5
	s_or_b64 vcc, s[0:1], vcc
	v_addc_co_u32_e32 v5, vcc, 0, v6, vcc
	v_mul_f64 v[3:4], v[3:4], s[12:13]
	v_cmp_gt_i32_e32 vcc, 31, v19
	v_cndmask_b32_e32 v5, v2, v5, vcc
	v_cmp_ne_u32_e32 vcc, 0, v7
	v_cndmask_b32_e64 v6, 0, 1, vcc
	v_lshl_or_b32 v6, v6, 9, v2
	v_cmp_eq_u32_e32 vcc, s14, v19
	v_cndmask_b32_e32 v5, v5, v6, vcc
	v_and_or_b32 v3, v4, s10, v3
	v_lshrrev_b32_e32 v6, 16, v8
	v_cmp_ne_u32_e32 vcc, 0, v3
	v_and_or_b32 v7, v6, s15, v5
	v_cndmask_b32_e64 v3, 0, 1, vcc
	v_lshrrev_b32_e32 v5, 8, v4
	v_bfe_u32 v6, v4, 20, 11
	v_and_or_b32 v3, v5, s11, v3
	v_sub_u32_e32 v8, 0x3f1, v6
	v_or_b32_e32 v5, 0x1000, v3
	v_med3_i32 v8, v8, 0, 13
	v_lshrrev_b32_e32 v10, v8, v5
	v_lshlrev_b32_e32 v8, v8, v10
	v_cmp_ne_u32_e32 vcc, v8, v5
	v_cndmask_b32_e64 v5, 0, 1, vcc
	v_add_u32_e32 v6, 0xfffffc10, v6
	v_or_b32_e32 v5, v10, v5
	v_lshl_or_b32 v8, v6, 12, v3
	v_cmp_gt_i32_e32 vcc, 1, v6
	v_cndmask_b32_e32 v5, v8, v5, vcc
	v_and_b32_e32 v8, 7, v5
	v_cmp_lt_i32_e32 vcc, 5, v8
	v_cmp_eq_u32_e64 s[0:1], 3, v8
	s_waitcnt lgkmcnt(0)
	v_lshrrev_b32_e32 v8, 16, v12
	v_lshrrev_b32_e32 v5, 2, v5
	s_or_b64 vcc, s[0:1], vcc
	s_waitcnt vmcnt(1)
	v_mul_f16_sdwa v10, v8, v9 dst_sel:DWORD dst_unused:UNUSED_PAD src0_sel:DWORD src1_sel:WORD_1
	v_addc_co_u32_e32 v5, vcc, 0, v5, vcc
	v_fma_f16 v10, v12, v9, v10
	v_cmp_gt_i32_e32 vcc, 31, v6
	v_cvt_f32_f16_e32 v10, v10
	v_cndmask_b32_e32 v5, v2, v5, vcc
	v_cmp_ne_u32_e32 vcc, 0, v3
	v_cndmask_b32_e64 v3, 0, 1, vcc
	v_lshl_or_b32 v3, v3, 9, v2
	v_cmp_eq_u32_e32 vcc, s14, v6
	v_cndmask_b32_e32 v3, v5, v3, vcc
	v_cvt_f64_f32_e32 v[5:6], v10
	v_lshrrev_b32_e32 v4, 16, v4
	v_and_or_b32 v10, v4, s15, v3
	v_and_b32_e32 v7, 0xffff, v7
	v_mul_f64 v[3:4], v[5:6], s[12:13]
	v_lshl_or_b32 v5, v10, 16, v7
	v_mov_b32_e32 v7, s7
	v_add_co_u32_e32 v0, vcc, s6, v0
	v_addc_co_u32_e32 v1, vcc, v1, v7, vcc
	global_store_dword v[0:1], v5, off
	v_and_or_b32 v3, v4, s10, v3
	v_cmp_ne_u32_e32 vcc, 0, v3
	v_cndmask_b32_e64 v3, 0, 1, vcc
	v_lshrrev_b32_e32 v5, 8, v4
	v_bfe_u32 v6, v4, 20, 11
	v_and_or_b32 v3, v5, s11, v3
	v_sub_u32_e32 v10, 0x3f1, v6
	v_or_b32_e32 v5, 0x1000, v3
	v_med3_i32 v10, v10, 0, 13
	v_lshrrev_b32_e32 v11, v10, v5
	v_lshlrev_b32_e32 v10, v10, v11
	v_cmp_ne_u32_e32 vcc, v10, v5
	v_cndmask_b32_e64 v5, 0, 1, vcc
	v_or_b32_e32 v5, v11, v5
	v_mul_f16_sdwa v11, v12, v9 dst_sel:DWORD dst_unused:UNUSED_PAD src0_sel:DWORD src1_sel:WORD_1
	v_fma_f16 v8, v9, v8, -v11
	v_add_u32_e32 v10, 0xfffffc10, v6
	v_cvt_f32_f16_e32 v8, v8
	v_lshl_or_b32 v6, v10, 12, v3
	v_cmp_gt_i32_e32 vcc, 1, v10
	v_cndmask_b32_e32 v5, v6, v5, vcc
	v_and_b32_e32 v6, 7, v5
	v_cmp_lt_i32_e32 vcc, 5, v6
	v_cmp_eq_u32_e64 s[0:1], 3, v6
	v_lshrrev_b32_e32 v9, 2, v5
	v_cvt_f64_f32_e32 v[5:6], v8
	s_or_b64 vcc, s[0:1], vcc
	v_addc_co_u32_e32 v8, vcc, 0, v9, vcc
	v_mul_f64 v[5:6], v[5:6], s[12:13]
	v_cmp_gt_i32_e32 vcc, 31, v10
	v_cndmask_b32_e32 v8, v2, v8, vcc
	v_cmp_ne_u32_e32 vcc, 0, v3
	v_cndmask_b32_e64 v3, 0, 1, vcc
	v_lshl_or_b32 v3, v3, 9, v2
	v_cmp_eq_u32_e32 vcc, s14, v10
	v_cndmask_b32_e32 v3, v8, v3, vcc
	v_lshrrev_b32_e32 v4, 16, v4
	v_and_or_b32 v3, v4, s15, v3
	v_and_or_b32 v4, v6, s10, v5
	v_cmp_ne_u32_e32 vcc, 0, v4
	v_cndmask_b32_e64 v4, 0, 1, vcc
	v_lshrrev_b32_e32 v5, 8, v6
	v_bfe_u32 v8, v6, 20, 11
	v_and_or_b32 v4, v5, s11, v4
	v_sub_u32_e32 v9, 0x3f1, v8
	v_or_b32_e32 v5, 0x1000, v4
	v_med3_i32 v9, v9, 0, 13
	v_lshrrev_b32_e32 v10, v9, v5
	v_lshlrev_b32_e32 v9, v9, v10
	v_cmp_ne_u32_e32 vcc, v9, v5
	v_cndmask_b32_e64 v5, 0, 1, vcc
	v_add_u32_e32 v8, 0xfffffc10, v8
	v_or_b32_e32 v5, v10, v5
	v_lshl_or_b32 v9, v8, 12, v4
	v_cmp_gt_i32_e32 vcc, 1, v8
	v_cndmask_b32_e32 v5, v9, v5, vcc
	v_and_b32_e32 v9, 7, v5
	v_cmp_lt_i32_e32 vcc, 5, v9
	v_cmp_eq_u32_e64 s[0:1], 3, v9
	v_lshrrev_b32_e32 v5, 2, v5
	s_or_b64 vcc, s[0:1], vcc
	v_addc_co_u32_e32 v5, vcc, 0, v5, vcc
	v_cmp_gt_i32_e32 vcc, 31, v8
	v_cndmask_b32_e32 v5, v2, v5, vcc
	v_cmp_ne_u32_e32 vcc, 0, v4
	v_cndmask_b32_e64 v4, 0, 1, vcc
	v_lshl_or_b32 v2, v4, 9, v2
	v_cmp_eq_u32_e32 vcc, s14, v8
	v_cndmask_b32_e32 v2, v5, v2, vcc
	v_lshrrev_b32_e32 v4, 16, v6
	v_and_or_b32 v2, v4, s15, v2
	v_and_b32_e32 v3, 0xffff, v3
	v_add_co_u32_e32 v0, vcc, s6, v0
	v_lshl_or_b32 v2, v2, 16, v3
	v_addc_co_u32_e32 v1, vcc, v1, v7, vcc
	global_store_dword v[0:1], v2, off
.LBB0_39:
	s_endpgm
	.section	.rodata,"a",@progbits
	.p2align	6, 0x0
	.amdhsa_kernel bluestein_single_back_len810_dim1_half_op_CI_CI
		.amdhsa_group_segment_fixed_size 3240
		.amdhsa_private_segment_fixed_size 0
		.amdhsa_kernarg_size 104
		.amdhsa_user_sgpr_count 6
		.amdhsa_user_sgpr_private_segment_buffer 1
		.amdhsa_user_sgpr_dispatch_ptr 0
		.amdhsa_user_sgpr_queue_ptr 0
		.amdhsa_user_sgpr_kernarg_segment_ptr 1
		.amdhsa_user_sgpr_dispatch_id 0
		.amdhsa_user_sgpr_flat_scratch_init 0
		.amdhsa_user_sgpr_private_segment_size 0
		.amdhsa_uses_dynamic_stack 0
		.amdhsa_system_sgpr_private_segment_wavefront_offset 0
		.amdhsa_system_sgpr_workgroup_id_x 1
		.amdhsa_system_sgpr_workgroup_id_y 0
		.amdhsa_system_sgpr_workgroup_id_z 0
		.amdhsa_system_sgpr_workgroup_info 0
		.amdhsa_system_vgpr_workitem_id 0
		.amdhsa_next_free_vgpr 96
		.amdhsa_next_free_sgpr 18
		.amdhsa_reserve_vcc 1
		.amdhsa_reserve_flat_scratch 0
		.amdhsa_float_round_mode_32 0
		.amdhsa_float_round_mode_16_64 0
		.amdhsa_float_denorm_mode_32 3
		.amdhsa_float_denorm_mode_16_64 3
		.amdhsa_dx10_clamp 1
		.amdhsa_ieee_mode 1
		.amdhsa_fp16_overflow 0
		.amdhsa_exception_fp_ieee_invalid_op 0
		.amdhsa_exception_fp_denorm_src 0
		.amdhsa_exception_fp_ieee_div_zero 0
		.amdhsa_exception_fp_ieee_overflow 0
		.amdhsa_exception_fp_ieee_underflow 0
		.amdhsa_exception_fp_ieee_inexact 0
		.amdhsa_exception_int_div_zero 0
	.end_amdhsa_kernel
	.text
.Lfunc_end0:
	.size	bluestein_single_back_len810_dim1_half_op_CI_CI, .Lfunc_end0-bluestein_single_back_len810_dim1_half_op_CI_CI
                                        ; -- End function
	.section	.AMDGPU.csdata,"",@progbits
; Kernel info:
; codeLenInByte = 18772
; NumSgprs: 22
; NumVgprs: 96
; ScratchSize: 0
; MemoryBound: 0
; FloatMode: 240
; IeeeMode: 1
; LDSByteSize: 3240 bytes/workgroup (compile time only)
; SGPRBlocks: 2
; VGPRBlocks: 23
; NumSGPRsForWavesPerEU: 22
; NumVGPRsForWavesPerEU: 96
; Occupancy: 2
; WaveLimiterHint : 1
; COMPUTE_PGM_RSRC2:SCRATCH_EN: 0
; COMPUTE_PGM_RSRC2:USER_SGPR: 6
; COMPUTE_PGM_RSRC2:TRAP_HANDLER: 0
; COMPUTE_PGM_RSRC2:TGID_X_EN: 1
; COMPUTE_PGM_RSRC2:TGID_Y_EN: 0
; COMPUTE_PGM_RSRC2:TGID_Z_EN: 0
; COMPUTE_PGM_RSRC2:TIDIG_COMP_CNT: 0
	.type	__hip_cuid_2bab40486cb6b20d,@object ; @__hip_cuid_2bab40486cb6b20d
	.section	.bss,"aw",@nobits
	.globl	__hip_cuid_2bab40486cb6b20d
__hip_cuid_2bab40486cb6b20d:
	.byte	0                               ; 0x0
	.size	__hip_cuid_2bab40486cb6b20d, 1

	.ident	"AMD clang version 19.0.0git (https://github.com/RadeonOpenCompute/llvm-project roc-6.4.0 25133 c7fe45cf4b819c5991fe208aaa96edf142730f1d)"
	.section	".note.GNU-stack","",@progbits
	.addrsig
	.addrsig_sym __hip_cuid_2bab40486cb6b20d
	.amdgpu_metadata
---
amdhsa.kernels:
  - .args:
      - .actual_access:  read_only
        .address_space:  global
        .offset:         0
        .size:           8
        .value_kind:     global_buffer
      - .actual_access:  read_only
        .address_space:  global
        .offset:         8
        .size:           8
        .value_kind:     global_buffer
      - .actual_access:  read_only
        .address_space:  global
        .offset:         16
        .size:           8
        .value_kind:     global_buffer
      - .actual_access:  read_only
        .address_space:  global
        .offset:         24
        .size:           8
        .value_kind:     global_buffer
      - .actual_access:  read_only
        .address_space:  global
        .offset:         32
        .size:           8
        .value_kind:     global_buffer
      - .offset:         40
        .size:           8
        .value_kind:     by_value
      - .address_space:  global
        .offset:         48
        .size:           8
        .value_kind:     global_buffer
      - .address_space:  global
        .offset:         56
        .size:           8
        .value_kind:     global_buffer
      - .address_space:  global
        .offset:         64
        .size:           8
        .value_kind:     global_buffer
      - .address_space:  global
        .offset:         72
        .size:           8
        .value_kind:     global_buffer
      - .offset:         80
        .size:           4
        .value_kind:     by_value
      - .address_space:  global
        .offset:         88
        .size:           8
        .value_kind:     global_buffer
      - .address_space:  global
        .offset:         96
        .size:           8
        .value_kind:     global_buffer
    .group_segment_fixed_size: 3240
    .kernarg_segment_align: 8
    .kernarg_segment_size: 104
    .language:       OpenCL C
    .language_version:
      - 2
      - 0
    .max_flat_workgroup_size: 81
    .name:           bluestein_single_back_len810_dim1_half_op_CI_CI
    .private_segment_fixed_size: 0
    .sgpr_count:     22
    .sgpr_spill_count: 0
    .symbol:         bluestein_single_back_len810_dim1_half_op_CI_CI.kd
    .uniform_work_group_size: 1
    .uses_dynamic_stack: false
    .vgpr_count:     96
    .vgpr_spill_count: 0
    .wavefront_size: 64
amdhsa.target:   amdgcn-amd-amdhsa--gfx906
amdhsa.version:
  - 1
  - 2
...

	.end_amdgpu_metadata
